;; amdgpu-corpus repo=ROCm/rocFFT kind=compiled arch=gfx906 opt=O3
	.text
	.amdgcn_target "amdgcn-amd-amdhsa--gfx906"
	.amdhsa_code_object_version 6
	.protected	bluestein_single_back_len1040_dim1_dp_op_CI_CI ; -- Begin function bluestein_single_back_len1040_dim1_dp_op_CI_CI
	.globl	bluestein_single_back_len1040_dim1_dp_op_CI_CI
	.p2align	8
	.type	bluestein_single_back_len1040_dim1_dp_op_CI_CI,@function
bluestein_single_back_len1040_dim1_dp_op_CI_CI: ; @bluestein_single_back_len1040_dim1_dp_op_CI_CI
; %bb.0:
	s_load_dwordx4 s[0:3], s[4:5], 0x28
	v_mul_u32_u24_e32 v1, 0x13c, v0
	v_add_u32_sdwa v140, s6, v1 dst_sel:DWORD dst_unused:UNUSED_PAD src0_sel:DWORD src1_sel:WORD_1
	v_mov_b32_e32 v141, 0
	s_waitcnt lgkmcnt(0)
	v_cmp_gt_u64_e32 vcc, s[0:1], v[140:141]
	s_and_saveexec_b64 s[0:1], vcc
	s_cbranch_execz .LBB0_23
; %bb.1:
	s_load_dwordx2 s[14:15], s[4:5], 0x0
	s_load_dwordx2 s[12:13], s[4:5], 0x38
	s_movk_i32 s0, 0xd0
	v_mul_lo_u16_sdwa v1, v1, s0 dst_sel:DWORD dst_unused:UNUSED_PAD src0_sel:WORD_1 src1_sel:DWORD
	v_sub_u16_e32 v142, v0, v1
	s_movk_i32 s0, 0x50
	v_cmp_gt_u16_e32 vcc, s0, v142
	v_lshlrev_b32_e32 v141, 4, v142
	s_and_saveexec_b64 s[6:7], vcc
	s_cbranch_execz .LBB0_3
; %bb.2:
	s_load_dwordx2 s[0:1], s[4:5], 0x18
	v_or_b32_e32 v67, 0x280, v142
	s_waitcnt lgkmcnt(0)
	s_load_dwordx4 s[8:11], s[0:1], 0x0
	s_waitcnt lgkmcnt(0)
	v_mad_u64_u32 v[0:1], s[0:1], s10, v140, 0
	v_mad_u64_u32 v[2:3], s[0:1], s8, v142, 0
	;; [unrolled: 1-line block ×4, first 2 shown]
	v_mov_b32_e32 v1, v4
	v_lshlrev_b64 v[0:1], 4, v[0:1]
	v_mov_b32_e32 v3, v5
	v_mov_b32_e32 v6, s3
	v_lshlrev_b64 v[2:3], 4, v[2:3]
	v_add_co_u32_e64 v63, s[0:1], s2, v0
	v_addc_co_u32_e64 v66, s[0:1], v6, v1, s[0:1]
	v_add_co_u32_e64 v16, s[0:1], v63, v2
	v_addc_co_u32_e64 v17, s[0:1], v66, v3, s[0:1]
	v_mov_b32_e32 v0, s15
	v_add_co_u32_e64 v86, s[0:1], s14, v141
	v_addc_co_u32_e64 v87, s[0:1], 0, v0, s[0:1]
	s_mul_i32 s0, s9, 0x500
	s_mul_hi_u32 s2, s8, 0x500
	s_add_i32 s2, s2, s0
	s_mul_i32 s3, s8, 0x500
	v_mov_b32_e32 v0, s2
	v_add_co_u32_e64 v18, s[0:1], s3, v16
	v_addc_co_u32_e64 v19, s[0:1], v17, v0, s[0:1]
	global_load_dwordx4 v[0:3], v[16:17], off
	global_load_dwordx4 v[4:7], v[18:19], off
	global_load_dwordx4 v[8:11], v141, s[14:15]
	global_load_dwordx4 v[12:15], v141, s[14:15] offset:1280
	v_mov_b32_e32 v16, s2
	v_add_co_u32_e64 v32, s[0:1], s3, v18
	v_addc_co_u32_e64 v33, s[0:1], v19, v16, s[0:1]
	v_add_co_u32_e64 v34, s[0:1], s3, v32
	v_addc_co_u32_e64 v35, s[0:1], v33, v16, s[0:1]
	global_load_dwordx4 v[16:19], v[32:33], off
	global_load_dwordx4 v[20:23], v[34:35], off
	global_load_dwordx4 v[24:27], v141, s[14:15] offset:2560
	global_load_dwordx4 v[28:31], v141, s[14:15] offset:3840
	v_mov_b32_e32 v32, s2
	v_add_co_u32_e64 v48, s[0:1], s3, v34
	v_addc_co_u32_e64 v49, s[0:1], v35, v32, s[0:1]
	s_movk_i32 s0, 0x1000
	v_add_co_u32_e64 v50, s[0:1], s0, v86
	v_addc_co_u32_e64 v51, s[0:1], 0, v87, s[0:1]
	s_movk_i32 s0, 0x2000
	v_add_co_u32_e64 v80, s[0:1], s0, v86
	v_addc_co_u32_e64 v81, s[0:1], 0, v87, s[0:1]
	v_mad_u64_u32 v[60:61], s[0:1], s8, v67, 0
	global_load_dwordx4 v[32:35], v[48:49], off
	global_load_dwordx4 v[36:39], v[50:51], off offset:1024
	global_load_dwordx4 v[40:43], v[50:51], off offset:2304
	;; [unrolled: 1-line block ×3, first 2 shown]
	v_mov_b32_e32 v51, s2
	v_mov_b32_e32 v50, v61
	v_mad_u64_u32 v[61:62], s[0:1], s9, v67, v[50:51]
	v_add_co_u32_e64 v56, s[0:1], s3, v48
	v_addc_co_u32_e64 v57, s[0:1], v49, v51, s[0:1]
	v_mov_b32_e32 v52, s2
	v_add_co_u32_e64 v58, s[0:1], s3, v56
	v_addc_co_u32_e64 v59, s[0:1], v57, v52, s[0:1]
	v_mov_b32_e32 v65, s2
	v_add_co_u32_e64 v64, s[0:1], s3, v58
	v_lshlrev_b64 v[60:61], 4, v[60:61]
	v_addc_co_u32_e64 v65, s[0:1], v59, v65, s[0:1]
	v_add_co_u32_e64 v60, s[0:1], v63, v60
	v_addc_co_u32_e64 v61, s[0:1], v66, v61, s[0:1]
	v_mov_b32_e32 v66, 0xa00
	v_mad_u64_u32 v[82:83], s[0:1], s8, v66, v[64:65]
	s_mul_i32 s0, s9, 0xa00
	global_load_dwordx4 v[48:51], v[56:57], off
	global_load_dwordx4 v[52:55], v[58:59], off
	v_add_u32_e32 v83, s0, v83
	global_load_dwordx4 v[56:59], v[64:65], off
	v_lshlrev_b32_e32 v64, 4, v67
	global_load_dwordx4 v[60:63], v[60:61], off
	v_add_co_u32_e64 v84, s[0:1], s3, v82
	global_load_dwordx4 v[64:67], v64, s[14:15]
	s_nop 0
	global_load_dwordx4 v[68:71], v[82:83], off
	global_load_dwordx4 v[72:75], v[80:81], off offset:768
	global_load_dwordx4 v[76:79], v[80:81], off offset:3328
	v_mov_b32_e32 v80, s2
	v_addc_co_u32_e64 v85, s[0:1], v83, v80, s[0:1]
	s_movk_i32 s0, 0x3000
	v_add_co_u32_e64 v104, s[0:1], s0, v86
	v_addc_co_u32_e64 v105, s[0:1], 0, v87, s[0:1]
	v_mov_b32_e32 v86, s2
	v_add_co_u32_e64 v96, s[0:1], s3, v84
	v_addc_co_u32_e64 v97, s[0:1], v85, v86, s[0:1]
	global_load_dwordx4 v[80:83], v[84:85], off
	v_mov_b32_e32 v98, s2
	v_add_co_u32_e64 v106, s[0:1], s3, v96
	global_load_dwordx4 v[84:87], v[96:97], off
	global_load_dwordx4 v[88:91], v[104:105], off offset:512
	global_load_dwordx4 v[92:95], v[104:105], off offset:1792
	v_addc_co_u32_e64 v107, s[0:1], v97, v98, s[0:1]
	global_load_dwordx4 v[96:99], v[106:107], off
	global_load_dwordx4 v[100:103], v[104:105], off offset:3072
	s_waitcnt vmcnt(23)
	v_mul_f64 v[104:105], v[2:3], v[10:11]
	v_mul_f64 v[10:11], v[0:1], v[10:11]
	s_waitcnt vmcnt(22)
	v_mul_f64 v[106:107], v[6:7], v[14:15]
	v_mul_f64 v[14:15], v[4:5], v[14:15]
	v_fma_f64 v[0:1], v[0:1], v[8:9], v[104:105]
	v_fma_f64 v[2:3], v[2:3], v[8:9], -v[10:11]
	s_waitcnt vmcnt(19)
	v_mul_f64 v[8:9], v[18:19], v[26:27]
	v_mul_f64 v[10:11], v[16:17], v[26:27]
	s_waitcnt vmcnt(18)
	v_mul_f64 v[26:27], v[22:23], v[30:31]
	v_mul_f64 v[30:31], v[20:21], v[30:31]
	v_fma_f64 v[4:5], v[4:5], v[12:13], v[106:107]
	v_fma_f64 v[6:7], v[6:7], v[12:13], -v[14:15]
	v_fma_f64 v[8:9], v[16:17], v[24:25], v[8:9]
	v_fma_f64 v[10:11], v[18:19], v[24:25], -v[10:11]
	v_fma_f64 v[12:13], v[20:21], v[28:29], v[26:27]
	s_waitcnt vmcnt(16)
	v_mul_f64 v[104:105], v[34:35], v[38:39]
	v_mul_f64 v[38:39], v[32:33], v[38:39]
	v_fma_f64 v[14:15], v[22:23], v[28:29], -v[30:31]
	ds_write_b128 v141, v[0:3]
	ds_write_b128 v141, v[4:7] offset:1280
	ds_write_b128 v141, v[8:11] offset:2560
	v_fma_f64 v[16:17], v[32:33], v[36:37], v[104:105]
	v_fma_f64 v[18:19], v[34:35], v[36:37], -v[38:39]
	ds_write_b128 v141, v[12:15] offset:3840
	ds_write_b128 v141, v[16:19] offset:5120
	s_waitcnt vmcnt(13)
	v_mul_f64 v[20:21], v[50:51], v[42:43]
	v_mul_f64 v[2:3], v[48:49], v[42:43]
	s_waitcnt vmcnt(12)
	v_mul_f64 v[4:5], v[54:55], v[46:47]
	v_mul_f64 v[6:7], v[52:53], v[46:47]
	;; [unrolled: 3-line block ×3, first 2 shown]
	v_mul_f64 v[12:13], v[62:63], v[66:67]
	v_mul_f64 v[14:15], v[60:61], v[66:67]
	s_waitcnt vmcnt(6)
	v_mul_f64 v[16:17], v[70:71], v[78:79]
	v_mul_f64 v[18:19], v[68:69], v[78:79]
	v_fma_f64 v[0:1], v[48:49], v[40:41], v[20:21]
	v_fma_f64 v[2:3], v[50:51], v[40:41], -v[2:3]
	v_fma_f64 v[4:5], v[52:53], v[44:45], v[4:5]
	v_fma_f64 v[6:7], v[54:55], v[44:45], -v[6:7]
	;; [unrolled: 2-line block ×5, first 2 shown]
	s_waitcnt vmcnt(3)
	v_mul_f64 v[20:21], v[82:83], v[90:91]
	v_mul_f64 v[22:23], v[80:81], v[90:91]
	s_waitcnt vmcnt(2)
	v_mul_f64 v[24:25], v[86:87], v[94:95]
	v_mul_f64 v[26:27], v[84:85], v[94:95]
	;; [unrolled: 3-line block ×3, first 2 shown]
	v_fma_f64 v[20:21], v[80:81], v[88:89], v[20:21]
	v_fma_f64 v[22:23], v[82:83], v[88:89], -v[22:23]
	v_fma_f64 v[24:25], v[84:85], v[92:93], v[24:25]
	v_fma_f64 v[26:27], v[86:87], v[92:93], -v[26:27]
	;; [unrolled: 2-line block ×3, first 2 shown]
	ds_write_b128 v141, v[0:3] offset:6400
	ds_write_b128 v141, v[4:7] offset:7680
	;; [unrolled: 1-line block ×8, first 2 shown]
.LBB0_3:
	s_or_b64 exec, exec, s[6:7]
	s_waitcnt lgkmcnt(0)
	s_barrier
	s_waitcnt lgkmcnt(0)
                                        ; implicit-def: $vgpr8_vgpr9
                                        ; implicit-def: $vgpr0_vgpr1
                                        ; implicit-def: $vgpr28_vgpr29
                                        ; implicit-def: $vgpr24_vgpr25
                                        ; implicit-def: $vgpr20_vgpr21
                                        ; implicit-def: $vgpr16_vgpr17
                                        ; implicit-def: $vgpr32_vgpr33
                                        ; implicit-def: $vgpr4_vgpr5
                                        ; implicit-def: $vgpr12_vgpr13
                                        ; implicit-def: $vgpr36_vgpr37
                                        ; implicit-def: $vgpr40_vgpr41
                                        ; implicit-def: $vgpr44_vgpr45
                                        ; implicit-def: $vgpr48_vgpr49
	s_and_saveexec_b64 s[0:1], vcc
	s_cbranch_execz .LBB0_5
; %bb.4:
	ds_read_b128 v[8:11], v141
	ds_read_b128 v[48:51], v141 offset:1280
	ds_read_b128 v[44:47], v141 offset:2560
	;; [unrolled: 1-line block ×12, first 2 shown]
.LBB0_5:
	s_or_b64 exec, exec, s[0:1]
	s_waitcnt lgkmcnt(11)
	v_add_f64 v[54:55], v[10:11], v[50:51]
	v_add_f64 v[52:53], v[8:9], v[48:49]
	s_waitcnt lgkmcnt(3)
	v_add_f64 v[74:75], v[30:31], v[38:39]
	v_add_f64 v[78:79], v[38:39], -v[30:31]
	s_waitcnt lgkmcnt(2)
	v_add_f64 v[70:71], v[18:19], v[42:43]
	v_add_f64 v[72:73], v[28:29], v[36:37]
	v_add_f64 v[76:77], v[36:37], -v[28:29]
	s_waitcnt lgkmcnt(0)
	v_add_f64 v[56:57], v[24:25], v[48:49]
	v_add_f64 v[54:55], v[46:47], v[54:55]
	v_add_f64 v[52:53], v[44:45], v[52:53]
	v_add_f64 v[58:59], v[26:27], v[50:51]
	v_add_f64 v[48:49], v[48:49], -v[24:25]
	v_add_f64 v[50:51], v[50:51], -v[26:27]
	v_add_f64 v[68:69], v[16:17], v[40:41]
	s_mov_b32 s24, 0x42a4c3d2
	s_mov_b32 s28, 0x66966769
	v_add_f64 v[54:55], v[42:43], v[54:55]
	v_add_f64 v[52:53], v[40:41], v[52:53]
	v_add_f64 v[42:43], v[42:43], -v[18:19]
	v_add_f64 v[40:41], v[40:41], -v[16:17]
	s_mov_b32 s16, 0x2ef20147
	s_mov_b32 s11, 0xbfddbe06
	;; [unrolled: 1-line block ×4, first 2 shown]
	v_add_f64 v[54:55], v[38:39], v[54:55]
	v_add_f64 v[52:53], v[36:37], v[52:53]
	s_mov_b32 s29, 0xbfefc445
	s_mov_b32 s17, 0xbfedeba7
	v_mul_f64 v[60:61], v[50:51], s[28:29]
	v_mul_f64 v[80:81], v[48:49], s[10:11]
	;; [unrolled: 1-line block ×3, first 2 shown]
	s_mov_b32 s6, 0xe00740e9
	v_add_f64 v[54:55], v[14:15], v[54:55]
	v_add_f64 v[52:53], v[12:13], v[52:53]
	s_mov_b32 s2, 0x1ea71119
	s_mov_b32 s0, 0xebaa3ed8
	;; [unrolled: 1-line block ×6, first 2 shown]
	v_add_f64 v[54:55], v[2:3], v[54:55]
	v_add_f64 v[52:53], v[0:1], v[52:53]
	s_mov_b32 s3, 0x3fe22d96
	s_mov_b32 s1, 0x3fbedb7d
	;; [unrolled: 1-line block ×5, first 2 shown]
	v_add_f64 v[66:67], v[22:23], v[46:47]
	v_add_f64 v[54:55], v[6:7], v[54:55]
	;; [unrolled: 1-line block ×3, first 2 shown]
	v_add_f64 v[46:47], v[46:47], -v[22:23]
	v_add_f64 v[36:37], v[32:33], v[12:13]
	v_add_f64 v[38:39], v[34:35], v[14:15]
	v_add_f64 v[12:13], v[12:13], -v[32:33]
	v_add_f64 v[14:15], v[14:15], -v[34:35]
	v_mul_f64 v[84:85], v[48:49], s[28:29]
	v_add_f64 v[54:55], v[34:35], v[54:55]
	v_add_f64 v[52:53], v[32:33], v[52:53]
	v_mul_f64 v[32:33], v[50:51], s[10:11]
	v_mul_f64 v[34:35], v[50:51], s[24:25]
	v_fma_f64 v[86:87], v[56:57], s[0:1], -v[60:61]
	v_fma_f64 v[88:89], v[56:57], s[0:1], v[60:61]
	s_mov_b32 s18, 0xd0032e0c
	s_mov_b32 s22, 0x93053d00
	v_add_f64 v[30:31], v[30:31], v[54:55]
	v_add_f64 v[28:29], v[28:29], v[52:53]
	v_mul_f64 v[52:53], v[50:51], s[16:17]
	v_mul_f64 v[54:55], v[50:51], s[20:21]
	;; [unrolled: 1-line block ×3, first 2 shown]
	s_mov_b32 s19, 0xbfe7f3cc
	s_mov_b32 s23, 0xbfef11f4
	v_add_f64 v[64:65], v[20:21], v[44:45]
	v_add_f64 v[18:19], v[18:19], v[30:31]
	;; [unrolled: 1-line block ×3, first 2 shown]
	v_add_f64 v[44:45], v[44:45], -v[20:21]
	v_fma_f64 v[28:29], v[56:57], s[6:7], -v[32:33]
	v_fma_f64 v[30:31], v[56:57], s[6:7], v[32:33]
	v_fma_f64 v[32:33], v[56:57], s[2:3], -v[34:35]
	v_fma_f64 v[34:35], v[56:57], s[2:3], v[34:35]
	v_fma_f64 v[90:91], v[56:57], s[22:23], -v[50:51]
	v_add_f64 v[18:19], v[22:23], v[18:19]
	v_add_f64 v[16:17], v[20:21], v[16:17]
	v_fma_f64 v[20:21], v[56:57], s[8:9], -v[52:53]
	v_fma_f64 v[22:23], v[56:57], s[8:9], v[52:53]
	v_fma_f64 v[52:53], v[56:57], s[18:19], -v[54:55]
	v_fma_f64 v[54:55], v[56:57], s[18:19], v[54:55]
	v_fma_f64 v[50:51], v[56:57], s[22:23], v[50:51]
	;; [unrolled: 1-line block ×3, first 2 shown]
	v_add_f64 v[62:63], v[26:27], v[18:19]
	v_mul_f64 v[18:19], v[48:49], s[16:17]
	v_add_f64 v[60:61], v[24:25], v[16:17]
	v_fma_f64 v[16:17], v[58:59], s[6:7], v[80:81]
	v_fma_f64 v[24:25], v[58:59], s[6:7], -v[80:81]
	v_mul_f64 v[26:27], v[48:49], s[20:21]
	v_mul_f64 v[48:49], v[48:49], s[26:27]
	v_fma_f64 v[80:81], v[58:59], s[2:3], -v[82:83]
	v_fma_f64 v[82:83], v[58:59], s[0:1], v[84:85]
	v_fma_f64 v[92:93], v[58:59], s[8:9], v[18:19]
	v_fma_f64 v[84:85], v[58:59], s[0:1], -v[84:85]
	v_fma_f64 v[18:19], v[58:59], s[8:9], -v[18:19]
	v_add_f64 v[30:31], v[8:9], v[30:31]
	v_fma_f64 v[94:95], v[58:59], s[18:19], v[26:27]
	v_fma_f64 v[26:27], v[58:59], s[18:19], -v[26:27]
	v_fma_f64 v[96:97], v[58:59], s[22:23], v[48:49]
	v_fma_f64 v[48:49], v[58:59], s[22:23], -v[48:49]
	v_add_f64 v[58:59], v[10:11], v[80:81]
	v_add_f64 v[80:81], v[8:9], v[86:87]
	;; [unrolled: 1-line block ×4, first 2 shown]
	v_mul_f64 v[92:93], v[46:47], s[24:25]
	v_mul_f64 v[98:99], v[44:45], s[24:25]
	;; [unrolled: 1-line block ×4, first 2 shown]
	v_add_f64 v[28:29], v[8:9], v[28:29]
	v_add_f64 v[16:17], v[10:11], v[16:17]
	;; [unrolled: 1-line block ×4, first 2 shown]
	v_fma_f64 v[102:103], v[64:65], s[2:3], -v[92:93]
	v_fma_f64 v[92:93], v[64:65], s[2:3], v[92:93]
	v_add_f64 v[56:57], v[10:11], v[56:57]
	v_add_f64 v[34:35], v[8:9], v[34:35]
	v_add_f64 v[82:83], v[10:11], v[82:83]
	v_add_f64 v[84:85], v[10:11], v[84:85]
	v_add_f64 v[20:21], v[8:9], v[20:21]
	v_add_f64 v[22:23], v[8:9], v[22:23]
	v_add_f64 v[18:19], v[10:11], v[18:19]
	v_add_f64 v[52:53], v[8:9], v[52:53]
	v_add_f64 v[94:95], v[10:11], v[94:95]
	v_add_f64 v[54:55], v[8:9], v[54:55]
	v_add_f64 v[26:27], v[10:11], v[26:27]
	v_add_f64 v[90:91], v[8:9], v[90:91]
	v_add_f64 v[96:97], v[10:11], v[96:97]
	v_fma_f64 v[104:105], v[66:67], s[2:3], v[98:99]
	v_fma_f64 v[98:99], v[66:67], s[2:3], -v[98:99]
	v_fma_f64 v[108:109], v[64:65], s[8:9], -v[100:101]
	v_add_f64 v[8:9], v[8:9], v[50:51]
	v_add_f64 v[10:11], v[10:11], v[48:49]
	;; [unrolled: 1-line block ×3, first 2 shown]
	v_fma_f64 v[48:49], v[66:67], s[8:9], v[106:107]
	v_mul_f64 v[50:51], v[46:47], s[26:27]
	v_mul_f64 v[92:93], v[44:45], s[26:27]
	s_mov_b32 s35, 0x3fe5384d
	s_mov_b32 s34, s20
	v_add_f64 v[28:29], v[102:103], v[28:29]
	v_add_f64 v[16:17], v[104:105], v[16:17]
	v_add_f64 v[24:25], v[98:99], v[24:25]
	v_add_f64 v[32:33], v[108:109], v[32:33]
	v_mul_f64 v[98:99], v[46:47], s[34:35]
	v_add_f64 v[48:49], v[48:49], v[56:57]
	v_fma_f64 v[56:57], v[64:65], s[8:9], v[100:101]
	v_fma_f64 v[100:101], v[66:67], s[8:9], -v[106:107]
	v_fma_f64 v[102:103], v[64:65], s[22:23], -v[50:51]
	v_fma_f64 v[104:105], v[66:67], s[22:23], v[92:93]
	v_fma_f64 v[50:51], v[64:65], s[22:23], v[50:51]
	v_fma_f64 v[92:93], v[66:67], s[22:23], -v[92:93]
	v_mul_f64 v[108:109], v[44:45], s[34:35]
	s_mov_b32 s31, 0x3fefc445
	s_mov_b32 s30, s28
	;; [unrolled: 1-line block ×3, first 2 shown]
	v_fma_f64 v[106:107], v[64:65], s[18:19], -v[98:99]
	v_add_f64 v[34:35], v[56:57], v[34:35]
	v_add_f64 v[56:57], v[100:101], v[58:59]
	v_add_f64 v[58:59], v[102:103], v[80:81]
	v_add_f64 v[80:81], v[104:105], v[82:83]
	v_add_f64 v[50:51], v[50:51], v[86:87]
	v_add_f64 v[82:83], v[92:93], v[84:85]
	v_fma_f64 v[84:85], v[66:67], s[18:19], v[108:109]
	v_fma_f64 v[86:87], v[64:65], s[18:19], v[98:99]
	v_fma_f64 v[92:93], v[66:67], s[18:19], -v[108:109]
	v_mul_f64 v[98:99], v[46:47], s[30:31]
	v_mul_f64 v[46:47], v[46:47], s[10:11]
	;; [unrolled: 1-line block ×5, first 2 shown]
	v_add_f64 v[84:85], v[84:85], v[88:89]
	v_add_f64 v[22:23], v[86:87], v[22:23]
	;; [unrolled: 1-line block ×3, first 2 shown]
	v_fma_f64 v[86:87], v[64:65], s[0:1], -v[98:99]
	v_fma_f64 v[88:89], v[64:65], s[0:1], v[98:99]
	v_fma_f64 v[92:93], v[64:65], s[6:7], -v[46:47]
	v_fma_f64 v[98:99], v[66:67], s[0:1], v[100:101]
	v_fma_f64 v[46:47], v[64:65], s[6:7], v[46:47]
	v_fma_f64 v[64:65], v[66:67], s[0:1], -v[100:101]
	v_mul_f64 v[100:101], v[42:43], s[28:29]
	v_fma_f64 v[102:103], v[66:67], s[6:7], v[44:45]
	v_fma_f64 v[44:45], v[66:67], s[6:7], -v[44:45]
	v_add_f64 v[52:53], v[86:87], v[52:53]
	v_add_f64 v[54:55], v[88:89], v[54:55]
	;; [unrolled: 1-line block ×5, first 2 shown]
	v_fma_f64 v[64:65], v[68:69], s[0:1], -v[100:101]
	v_fma_f64 v[88:89], v[70:71], s[0:1], v[104:105]
	v_mul_f64 v[92:93], v[42:43], s[26:27]
	v_mul_f64 v[94:95], v[40:41], s[26:27]
	s_mov_b32 s37, 0x3fedeba7
	s_mov_b32 s36, s16
	v_add_f64 v[90:91], v[102:103], v[96:97]
	v_add_f64 v[8:9], v[46:47], v[8:9]
	v_add_f64 v[10:11], v[44:45], v[10:11]
	v_add_f64 v[28:29], v[64:65], v[28:29]
	v_fma_f64 v[44:45], v[68:69], s[0:1], v[100:101]
	v_add_f64 v[16:17], v[88:89], v[16:17]
	v_fma_f64 v[46:47], v[70:71], s[0:1], -v[104:105]
	v_fma_f64 v[64:65], v[68:69], s[22:23], -v[92:93]
	v_fma_f64 v[88:89], v[70:71], s[22:23], v[94:95]
	v_mul_f64 v[96:97], v[42:43], s[36:37]
	v_add_f64 v[20:21], v[106:107], v[20:21]
	v_mul_f64 v[98:99], v[40:41], s[10:11]
	v_add_f64 v[30:31], v[44:45], v[30:31]
	;; [unrolled: 2-line block ×3, first 2 shown]
	v_add_f64 v[32:33], v[64:65], v[32:33]
	v_fma_f64 v[46:47], v[68:69], s[22:23], v[92:93]
	v_add_f64 v[48:49], v[88:89], v[48:49]
	v_fma_f64 v[64:65], v[70:71], s[22:23], -v[94:95]
	v_fma_f64 v[88:89], v[68:69], s[8:9], -v[96:97]
	v_mul_f64 v[92:93], v[42:43], s[10:11]
	v_fma_f64 v[94:95], v[70:71], s[8:9], v[44:45]
	v_fma_f64 v[44:45], v[70:71], s[8:9], -v[44:45]
	v_fma_f64 v[96:97], v[68:69], s[8:9], v[96:97]
	v_add_f64 v[34:35], v[46:47], v[34:35]
	v_mul_lo_u16_e32 v145, 13, v142
	v_add_f64 v[46:47], v[64:65], v[56:57]
	v_add_f64 v[56:57], v[88:89], v[58:59]
	v_fma_f64 v[58:59], v[68:69], s[6:7], -v[92:93]
	v_add_f64 v[64:65], v[94:95], v[80:81]
	v_fma_f64 v[80:81], v[70:71], s[6:7], v[98:99]
	v_fma_f64 v[88:89], v[68:69], s[6:7], v[92:93]
	v_add_f64 v[44:45], v[44:45], v[82:83]
	v_fma_f64 v[82:83], v[70:71], s[6:7], -v[98:99]
	v_mul_f64 v[92:93], v[42:43], s[24:25]
	v_mul_f64 v[42:43], v[42:43], s[20:21]
	v_add_f64 v[20:21], v[58:59], v[20:21]
	v_mul_f64 v[58:59], v[40:41], s[24:25]
	v_mul_f64 v[40:41], v[40:41], s[20:21]
	v_add_f64 v[80:81], v[80:81], v[84:85]
	v_add_f64 v[22:23], v[88:89], v[22:23]
	;; [unrolled: 1-line block ×3, first 2 shown]
	v_fma_f64 v[82:83], v[68:69], s[2:3], -v[92:93]
	v_fma_f64 v[84:85], v[68:69], s[2:3], v[92:93]
	v_fma_f64 v[88:89], v[68:69], s[18:19], -v[42:43]
	v_fma_f64 v[92:93], v[70:71], s[2:3], v[58:59]
	v_fma_f64 v[42:43], v[68:69], s[18:19], v[42:43]
	v_fma_f64 v[58:59], v[70:71], s[2:3], -v[58:59]
	v_fma_f64 v[68:69], v[70:71], s[18:19], v[40:41]
	v_fma_f64 v[40:41], v[70:71], s[18:19], -v[40:41]
	v_mul_f64 v[70:71], v[78:79], s[16:17]
	v_mul_f64 v[94:95], v[76:77], s[16:17]
	v_add_f64 v[52:53], v[82:83], v[52:53]
	v_add_f64 v[54:55], v[84:85], v[54:55]
	;; [unrolled: 1-line block ×3, first 2 shown]
	v_mul_f64 v[42:43], v[76:77], s[34:35]
	v_add_f64 v[26:27], v[58:59], v[26:27]
	v_add_f64 v[10:11], v[40:41], v[10:11]
	v_fma_f64 v[82:83], v[72:73], s[8:9], -v[70:71]
	v_fma_f64 v[84:85], v[74:75], s[8:9], v[94:95]
	v_mul_f64 v[40:41], v[78:79], s[34:35]
	v_add_f64 v[58:59], v[88:89], v[86:87]
	v_add_f64 v[68:69], v[68:69], v[90:91]
	v_fma_f64 v[70:71], v[72:73], s[8:9], v[70:71]
	v_fma_f64 v[86:87], v[74:75], s[8:9], -v[94:95]
	v_fma_f64 v[90:91], v[74:75], s[18:19], v[42:43]
	v_add_f64 v[28:29], v[82:83], v[28:29]
	v_add_f64 v[16:17], v[84:85], v[16:17]
	v_mul_f64 v[82:83], v[78:79], s[10:11]
	v_mul_f64 v[84:85], v[76:77], s[10:11]
	v_fma_f64 v[88:89], v[72:73], s[18:19], -v[40:41]
	v_add_f64 v[30:31], v[70:71], v[30:31]
	v_add_f64 v[24:25], v[86:87], v[24:25]
	v_fma_f64 v[40:41], v[72:73], s[18:19], v[40:41]
	v_fma_f64 v[42:43], v[74:75], s[18:19], -v[42:43]
	v_add_f64 v[48:49], v[90:91], v[48:49]
	v_fma_f64 v[70:71], v[72:73], s[6:7], -v[82:83]
	v_fma_f64 v[86:87], v[74:75], s[6:7], v[84:85]
	v_add_f64 v[32:33], v[88:89], v[32:33]
	v_mul_f64 v[88:89], v[78:79], s[28:29]
	v_mul_f64 v[90:91], v[76:77], s[28:29]
	s_mov_b32 s35, 0x3fcea1e5
	s_mov_b32 s34, s26
	v_add_f64 v[50:51], v[96:97], v[50:51]
	v_add_f64 v[34:35], v[40:41], v[34:35]
	;; [unrolled: 1-line block ×5, first 2 shown]
	v_fma_f64 v[56:57], v[72:73], s[6:7], v[82:83]
	v_fma_f64 v[64:65], v[74:75], s[6:7], -v[84:85]
	v_fma_f64 v[70:71], v[72:73], s[0:1], -v[88:89]
	v_fma_f64 v[82:83], v[74:75], s[0:1], v[90:91]
	v_mul_f64 v[84:85], v[78:79], s[34:35]
	v_mul_f64 v[86:87], v[76:77], s[34:35]
	s_mov_b32 s29, 0x3fea55e2
	s_mov_b32 s28, s24
	v_add_f64 v[66:67], v[92:93], v[66:67]
	v_add_f64 v[50:51], v[56:57], v[50:51]
	;; [unrolled: 1-line block ×5, first 2 shown]
	v_fma_f64 v[64:65], v[72:73], s[0:1], v[88:89]
	v_fma_f64 v[70:71], v[74:75], s[0:1], -v[90:91]
	v_fma_f64 v[80:81], v[72:73], s[22:23], -v[84:85]
	v_fma_f64 v[82:83], v[74:75], s[22:23], v[86:87]
	v_mul_f64 v[78:79], v[78:79], s[28:29]
	v_mul_f64 v[76:77], v[76:77], s[28:29]
	v_add_f64 v[96:97], v[0:1], -v[4:5]
	v_add_f64 v[0:1], v[0:1], v[4:5]
	v_add_f64 v[22:23], v[64:65], v[22:23]
	;; [unrolled: 1-line block ×5, first 2 shown]
	v_fma_f64 v[66:67], v[72:73], s[22:23], v[84:85]
	v_fma_f64 v[70:71], v[74:75], s[22:23], -v[86:87]
	v_fma_f64 v[80:81], v[72:73], s[2:3], -v[78:79]
	v_fma_f64 v[82:83], v[74:75], s[2:3], v[76:77]
	v_mul_f64 v[84:85], v[14:15], s[20:21]
	v_mul_f64 v[86:87], v[12:13], s[20:21]
	v_fma_f64 v[72:73], v[72:73], s[2:3], v[78:79]
	v_fma_f64 v[74:75], v[74:75], s[2:3], -v[76:77]
	v_add_f64 v[54:55], v[66:67], v[54:55]
	v_add_f64 v[26:27], v[70:71], v[26:27]
	;; [unrolled: 1-line block ×4, first 2 shown]
	v_fma_f64 v[68:69], v[36:37], s[18:19], -v[84:85]
	v_fma_f64 v[70:71], v[38:39], s[18:19], v[86:87]
	v_add_f64 v[8:9], v[72:73], v[8:9]
	v_mul_f64 v[72:73], v[14:15], s[30:31]
	v_add_f64 v[10:11], v[74:75], v[10:11]
	v_mul_f64 v[74:75], v[12:13], s[30:31]
	v_fma_f64 v[76:77], v[36:37], s[18:19], v[84:85]
	v_fma_f64 v[78:79], v[38:39], s[18:19], -v[86:87]
	v_add_f64 v[28:29], v[68:69], v[28:29]
	v_add_f64 v[16:17], v[70:71], v[16:17]
	v_mul_f64 v[68:69], v[14:15], s[24:25]
	v_mul_f64 v[70:71], v[12:13], s[24:25]
	v_fma_f64 v[80:81], v[36:37], s[0:1], -v[72:73]
	v_fma_f64 v[82:83], v[38:39], s[0:1], v[74:75]
	v_add_f64 v[30:31], v[76:77], v[30:31]
	v_add_f64 v[24:25], v[78:79], v[24:25]
	v_fma_f64 v[72:73], v[36:37], s[0:1], v[72:73]
	v_fma_f64 v[74:75], v[38:39], s[0:1], -v[74:75]
	v_fma_f64 v[76:77], v[36:37], s[2:3], -v[68:69]
	v_fma_f64 v[78:79], v[38:39], s[2:3], v[70:71]
	v_add_f64 v[32:33], v[80:81], v[32:33]
	v_mul_f64 v[80:81], v[14:15], s[34:35]
	v_add_f64 v[48:49], v[82:83], v[48:49]
	v_mul_f64 v[82:83], v[12:13], s[34:35]
	v_add_f64 v[34:35], v[72:73], v[34:35]
	v_fma_f64 v[68:69], v[36:37], s[2:3], v[68:69]
	v_add_f64 v[42:43], v[76:77], v[42:43]
	v_add_f64 v[46:47], v[78:79], v[46:47]
	v_fma_f64 v[70:71], v[38:39], s[2:3], -v[70:71]
	v_fma_f64 v[72:73], v[36:37], s[22:23], -v[80:81]
	v_mul_f64 v[76:77], v[14:15], s[10:11]
	v_mul_f64 v[78:79], v[12:13], s[10:11]
	v_fma_f64 v[80:81], v[36:37], s[22:23], v[80:81]
	v_add_f64 v[40:41], v[74:75], v[40:41]
	v_fma_f64 v[74:75], v[38:39], s[22:23], v[82:83]
	v_fma_f64 v[82:83], v[38:39], s[22:23], -v[82:83]
	v_add_f64 v[50:51], v[68:69], v[50:51]
	v_add_f64 v[44:45], v[70:71], v[44:45]
	v_fma_f64 v[68:69], v[36:37], s[6:7], -v[76:77]
	v_fma_f64 v[70:71], v[38:39], s[6:7], v[78:79]
	v_add_f64 v[22:23], v[80:81], v[22:23]
	v_mul_f64 v[14:15], v[14:15], s[16:17]
	v_mul_f64 v[12:13], v[12:13], s[16:17]
	v_add_f64 v[80:81], v[2:3], -v[6:7]
	v_add_f64 v[20:21], v[72:73], v[20:21]
	v_add_f64 v[18:19], v[82:83], v[18:19]
	v_fma_f64 v[72:73], v[36:37], s[6:7], v[76:77]
	v_add_f64 v[52:53], v[68:69], v[52:53]
	v_add_f64 v[82:83], v[70:71], v[64:65]
	v_fma_f64 v[64:65], v[36:37], s[8:9], -v[14:15]
	v_fma_f64 v[68:69], v[38:39], s[8:9], v[12:13]
	v_add_f64 v[2:3], v[2:3], v[6:7]
	v_mul_f64 v[4:5], v[80:81], s[26:27]
	v_mul_f64 v[6:7], v[96:97], s[26:27]
	v_add_f64 v[56:57], v[74:75], v[56:57]
	v_fma_f64 v[74:75], v[38:39], s[6:7], -v[78:79]
	v_add_f64 v[54:55], v[72:73], v[54:55]
	v_fma_f64 v[14:15], v[36:37], s[8:9], v[14:15]
	v_fma_f64 v[12:13], v[38:39], s[8:9], -v[12:13]
	v_add_f64 v[36:37], v[64:65], v[58:59]
	v_add_f64 v[38:39], v[68:69], v[66:67]
	v_mul_f64 v[58:59], v[80:81], s[10:11]
	v_mul_f64 v[72:73], v[96:97], s[10:11]
	v_fma_f64 v[64:65], v[0:1], s[22:23], -v[4:5]
	v_fma_f64 v[66:67], v[2:3], s[22:23], v[6:7]
	v_fma_f64 v[4:5], v[0:1], s[22:23], v[4:5]
	v_fma_f64 v[6:7], v[2:3], s[22:23], -v[6:7]
	v_add_f64 v[8:9], v[14:15], v[8:9]
	v_add_f64 v[10:11], v[12:13], v[10:11]
	v_fma_f64 v[12:13], v[0:1], s[6:7], -v[58:59]
	v_fma_f64 v[14:15], v[2:3], s[6:7], v[72:73]
	v_add_f64 v[64:65], v[64:65], v[28:29]
	v_add_f64 v[66:67], v[66:67], v[16:17]
	v_mul_f64 v[16:17], v[80:81], s[20:21]
	v_mul_f64 v[28:29], v[96:97], s[20:21]
	v_add_f64 v[84:85], v[4:5], v[30:31]
	v_add_f64 v[86:87], v[6:7], v[24:25]
	v_fma_f64 v[4:5], v[0:1], s[6:7], v[58:59]
	v_fma_f64 v[6:7], v[2:3], s[6:7], -v[72:73]
	v_mul_f64 v[24:25], v[80:81], s[28:29]
	v_mul_f64 v[30:31], v[96:97], s[28:29]
	v_add_f64 v[68:69], v[12:13], v[32:33]
	v_add_f64 v[70:71], v[14:15], v[48:49]
	v_fma_f64 v[12:13], v[0:1], s[18:19], -v[16:17]
	v_fma_f64 v[14:15], v[2:3], s[18:19], v[28:29]
	v_fma_f64 v[16:17], v[0:1], s[18:19], v[16:17]
	v_add_f64 v[92:93], v[4:5], v[34:35]
	v_add_f64 v[94:95], v[6:7], v[40:41]
	v_fma_f64 v[4:5], v[0:1], s[2:3], -v[24:25]
	v_fma_f64 v[6:7], v[2:3], s[2:3], v[30:31]
	v_add_f64 v[26:27], v[74:75], v[26:27]
	v_add_f64 v[72:73], v[12:13], v[42:43]
	;; [unrolled: 1-line block ×4, first 2 shown]
	v_fma_f64 v[12:13], v[0:1], s[2:3], v[24:25]
	v_fma_f64 v[14:15], v[2:3], s[2:3], -v[30:31]
	v_mul_f64 v[16:17], v[80:81], s[16:17]
	v_mul_f64 v[24:25], v[96:97], s[16:17]
	v_add_f64 v[76:77], v[4:5], v[20:21]
	v_add_f64 v[78:79], v[6:7], v[56:57]
	v_mul_f64 v[4:5], v[80:81], s[30:31]
	v_mul_f64 v[6:7], v[96:97], s[30:31]
	v_fma_f64 v[28:29], v[2:3], s[18:19], -v[28:29]
	v_add_f64 v[100:101], v[12:13], v[22:23]
	v_add_f64 v[102:103], v[14:15], v[18:19]
	v_fma_f64 v[12:13], v[0:1], s[8:9], -v[16:17]
	v_fma_f64 v[14:15], v[2:3], s[8:9], v[24:25]
	v_fma_f64 v[16:17], v[0:1], s[8:9], v[16:17]
	v_fma_f64 v[18:19], v[2:3], s[8:9], -v[24:25]
	v_fma_f64 v[20:21], v[0:1], s[0:1], -v[4:5]
	v_fma_f64 v[22:23], v[2:3], s[0:1], v[6:7]
	v_fma_f64 v[0:1], v[0:1], s[0:1], v[4:5]
	v_fma_f64 v[2:3], v[2:3], s[0:1], -v[6:7]
	v_add_f64 v[90:91], v[28:29], v[44:45]
	v_add_f64 v[80:81], v[12:13], v[52:53]
	;; [unrolled: 1-line block ×9, first 2 shown]
	s_load_dwordx2 s[2:3], s[4:5], 0x8
	s_waitcnt lgkmcnt(0)
	s_barrier
	s_and_saveexec_b64 s[0:1], vcc
	s_cbranch_execz .LBB0_7
; %bb.6:
	v_lshlrev_b32_e32 v0, 4, v145
	ds_write_b128 v0, v[60:63]
	ds_write_b128 v0, v[64:67] offset:16
	ds_write_b128 v0, v[68:71] offset:32
	;; [unrolled: 1-line block ×12, first 2 shown]
.LBB0_7:
	s_or_b64 exec, exec, s[0:1]
	s_load_dwordx2 s[4:5], s[4:5], 0x20
	s_movk_i32 s0, 0x41
	v_cmp_gt_u16_e64 s[0:1], s0, v142
	s_waitcnt lgkmcnt(0)
	s_barrier
	s_waitcnt lgkmcnt(0)
                                        ; implicit-def: $vgpr120_vgpr121
                                        ; implicit-def: $vgpr116_vgpr117
                                        ; implicit-def: $vgpr112_vgpr113
	s_and_saveexec_b64 s[6:7], s[0:1]
	s_cbranch_execz .LBB0_9
; %bb.8:
	ds_read_b128 v[60:63], v141
	ds_read_b128 v[64:67], v141 offset:1040
	ds_read_b128 v[68:71], v141 offset:2080
	;; [unrolled: 1-line block ×15, first 2 shown]
.LBB0_9:
	s_or_b64 exec, exec, s[6:7]
	s_movk_i32 s6, 0x4f
	v_mul_lo_u16_sdwa v0, v142, s6 dst_sel:DWORD dst_unused:UNUSED_PAD src0_sel:BYTE_0 src1_sel:DWORD
	v_lshrrev_b16_e32 v143, 10, v0
	v_mul_lo_u16_e32 v0, 13, v143
	v_sub_u16_e32 v0, v142, v0
	v_and_b32_e32 v144, 0xff, v0
	v_mov_b32_e32 v0, s2
	s_movk_i32 s6, 0xf0
	v_mov_b32_e32 v1, s3
	v_mad_u64_u32 v[52:53], s[6:7], v144, s6, v[0:1]
	global_load_dwordx4 v[4:7], v[52:53], off
	global_load_dwordx4 v[16:19], v[52:53], off offset:16
	global_load_dwordx4 v[8:11], v[52:53], off offset:32
	;; [unrolled: 1-line block ×13, first 2 shown]
	s_nop 0
	global_load_dwordx4 v[52:55], v[52:53], off offset:224
	s_mov_b32 s6, 0x667f3bcd
	s_mov_b32 s7, 0xbfe6a09e
	;; [unrolled: 1-line block ×12, first 2 shown]
	s_waitcnt vmcnt(0) lgkmcnt(0)
	s_barrier
	v_mul_f64 v[124:125], v[66:67], v[6:7]
	v_mul_f64 v[130:131], v[68:69], v[18:19]
	;; [unrolled: 1-line block ×30, first 2 shown]
	v_fma_f64 v[70:71], v[70:71], v[16:17], v[130:131]
	v_fma_f64 v[76:77], v[76:77], v[0:1], -v[136:137]
	v_fma_f64 v[96:97], v[96:97], v[32:33], -v[150:151]
	v_fma_f64 v[110:111], v[110:111], v[12:13], v[160:161]
	v_fma_f64 v[90:91], v[90:91], v[40:41], v[168:169]
	v_fma_f64 v[84:85], v[84:85], v[44:45], -v[174:175]
	v_fma_f64 v[116:117], v[116:117], v[56:57], -v[182:183]
	v_fma_f64 v[64:65], v[64:65], v[4:5], -v[124:125]
	v_fma_f64 v[66:67], v[66:67], v[4:5], v[126:127]
	v_fma_f64 v[68:69], v[68:69], v[16:17], -v[128:129]
	v_fma_f64 v[72:73], v[72:73], v[8:9], -v[132:133]
	v_fma_f64 v[74:75], v[74:75], v[8:9], v[134:135]
	v_fma_f64 v[78:79], v[78:79], v[0:1], v[138:139]
	v_fma_f64 v[80:81], v[80:81], v[20:21], -v[146:147]
	v_fma_f64 v[82:83], v[82:83], v[20:21], v[148:149]
	v_fma_f64 v[98:99], v[98:99], v[32:33], v[152:153]
	v_fma_f64 v[104:105], v[104:105], v[24:25], -v[154:155]
	v_fma_f64 v[106:107], v[106:107], v[24:25], v[156:157]
	v_fma_f64 v[108:109], v[108:109], v[12:13], -v[158:159]
	v_fma_f64 v[100:101], v[100:101], v[28:29], -v[162:163]
	v_fma_f64 v[102:103], v[102:103], v[28:29], v[164:165]
	v_fma_f64 v[88:89], v[88:89], v[40:41], -v[166:167]
	v_fma_f64 v[92:93], v[92:93], v[36:37], -v[170:171]
	v_fma_f64 v[94:95], v[94:95], v[36:37], v[172:173]
	v_fma_f64 v[86:87], v[86:87], v[44:45], v[176:177]
	v_fma_f64 v[112:113], v[112:113], v[48:49], -v[178:179]
	v_fma_f64 v[114:115], v[114:115], v[48:49], v[180:181]
	v_fma_f64 v[118:119], v[118:119], v[56:57], v[184:185]
	v_fma_f64 v[120:121], v[120:121], v[52:53], -v[186:187]
	v_fma_f64 v[122:123], v[122:123], v[52:53], v[188:189]
	v_add_f64 v[110:111], v[62:63], -v[110:111]
	v_add_f64 v[84:85], v[76:77], -v[84:85]
	;; [unrolled: 1-line block ×16, first 2 shown]
	v_add_f64 v[130:131], v[110:111], v[84:85]
	v_add_f64 v[134:135], v[90:91], v[116:117]
	v_fma_f64 v[126:127], v[62:63], 2.0, -v[110:111]
	v_add_f64 v[128:129], v[108:109], -v[86:87]
	v_add_f64 v[132:133], v[88:89], -v[118:119]
	;; [unrolled: 1-line block ×4, first 2 shown]
	v_add_f64 v[146:147], v[94:95], v[120:121]
	v_add_f64 v[148:149], v[102:103], v[112:113]
	v_fma_f64 v[62:63], v[110:111], 2.0, -v[130:131]
	v_fma_f64 v[110:111], v[90:91], 2.0, -v[134:135]
	;; [unrolled: 1-line block ×11, first 2 shown]
	v_fma_f64 v[70:71], v[110:111], s[6:7], v[62:63]
	v_fma_f64 v[76:77], v[76:77], 2.0, -v[84:85]
	v_fma_f64 v[84:85], v[68:69], 2.0, -v[88:89]
	v_fma_f64 v[68:69], v[108:109], s[6:7], v[60:61]
	v_fma_f64 v[88:89], v[152:153], s[6:7], v[150:151]
	;; [unrolled: 1-line block ×3, first 2 shown]
	v_fma_f64 v[96:97], v[96:97], 2.0, -v[116:117]
	v_fma_f64 v[98:99], v[98:99], 2.0, -v[118:119]
	;; [unrolled: 1-line block ×4, first 2 shown]
	v_fma_f64 v[160:161], v[108:109], s[8:9], v[70:71]
	v_fma_f64 v[64:65], v[80:81], 2.0, -v[112:113]
	v_fma_f64 v[66:67], v[82:83], 2.0, -v[114:115]
	;; [unrolled: 1-line block ×4, first 2 shown]
	v_fma_f64 v[158:159], v[110:111], s[6:7], v[68:69]
	v_fma_f64 v[88:89], v[154:155], s[6:7], v[88:89]
	;; [unrolled: 1-line block ×3, first 2 shown]
	v_fma_f64 v[74:75], v[74:75], 2.0, -v[94:95]
	v_fma_f64 v[68:69], v[106:107], 2.0, -v[122:123]
	v_add_f64 v[78:79], v[126:127], -v[78:79]
	v_add_f64 v[92:93], v[84:85], -v[96:97]
	;; [unrolled: 1-line block ×6, first 2 shown]
	v_fma_f64 v[64:65], v[132:133], s[8:9], v[128:129]
	v_fma_f64 v[70:71], v[134:135], s[8:9], v[130:131]
	;; [unrolled: 1-line block ×3, first 2 shown]
	v_fma_f64 v[60:61], v[60:61], 2.0, -v[158:159]
	v_fma_f64 v[62:63], v[62:63], 2.0, -v[160:161]
	;; [unrolled: 1-line block ×4, first 2 shown]
	v_add_f64 v[76:77], v[124:125], -v[76:77]
	v_add_f64 v[114:115], v[74:75], -v[68:69]
	v_fma_f64 v[66:67], v[138:139], s[8:9], v[136:137]
	v_add_f64 v[152:153], v[78:79], v[92:93]
	v_add_f64 v[154:155], v[98:99], v[116:117]
	v_fma_f64 v[134:135], v[134:135], s[6:7], v[64:65]
	v_fma_f64 v[132:133], v[132:133], s[8:9], v[70:71]
	;; [unrolled: 1-line block ×3, first 2 shown]
	v_add_f64 v[150:151], v[76:77], -v[94:95]
	v_add_f64 v[118:119], v[96:97], -v[114:115]
	v_fma_f64 v[146:147], v[146:147], s[6:7], v[66:67]
	v_fma_f64 v[68:69], v[78:79], 2.0, -v[152:153]
	v_fma_f64 v[108:109], v[98:99], 2.0, -v[154:155]
	;; [unrolled: 1-line block ×3, first 2 shown]
	v_fma_f64 v[104:105], v[80:81], s[10:11], v[60:61]
	v_fma_f64 v[106:107], v[82:83], s[10:11], v[62:63]
	v_fma_f64 v[70:71], v[130:131], 2.0, -v[132:133]
	v_fma_f64 v[128:129], v[148:149], 2.0, -v[138:139]
	;; [unrolled: 1-line block ×5, first 2 shown]
	v_fma_f64 v[122:123], v[108:109], s[6:7], v[68:69]
	v_fma_f64 v[104:105], v[82:83], s[16:17], v[104:105]
	;; [unrolled: 1-line block ×3, first 2 shown]
	v_fma_f64 v[76:77], v[124:125], 2.0, -v[76:77]
	v_fma_f64 v[80:81], v[128:129], s[16:17], v[70:71]
	v_fma_f64 v[78:79], v[126:127], 2.0, -v[78:79]
	v_fma_f64 v[82:83], v[84:85], 2.0, -v[92:93]
	;; [unrolled: 1-line block ×7, first 2 shown]
	v_fma_f64 v[112:113], v[110:111], s[6:7], v[64:65]
	v_fma_f64 v[110:111], v[110:111], s[8:9], v[122:123]
	v_fma_f64 v[114:115], v[120:121], s[20:21], v[80:81]
	v_fma_f64 v[80:81], v[88:89], s[18:19], v[158:159]
	v_fma_f64 v[96:97], v[90:91], s[18:19], v[160:161]
	v_add_f64 v[72:73], v[76:77], -v[82:83]
	v_add_f64 v[122:123], v[78:79], -v[84:85]
	;; [unrolled: 1-line block ×4, first 2 shown]
	v_fma_f64 v[82:83], v[118:119], s[8:9], v[150:151]
	v_fma_f64 v[100:101], v[154:155], s[8:9], v[152:153]
	v_fma_f64 v[102:103], v[146:147], s[20:21], v[134:135]
	v_fma_f64 v[116:117], v[138:139], s[20:21], v[132:133]
	v_fma_f64 v[130:131], v[120:121], s[16:17], v[66:67]
	v_fma_f64 v[74:75], v[76:77], 2.0, -v[72:73]
	v_fma_f64 v[120:121], v[78:79], 2.0, -v[122:123]
	;; [unrolled: 1-line block ×4, first 2 shown]
	v_fma_f64 v[76:77], v[90:91], s[10:11], v[80:81]
	v_fma_f64 v[78:79], v[88:89], s[20:21], v[96:97]
	;; [unrolled: 1-line block ×8, first 2 shown]
	v_add_f64 v[100:101], v[74:75], -v[124:125]
	v_add_f64 v[102:103], v[120:121], -v[92:93]
	;; [unrolled: 1-line block ×3, first 2 shown]
	v_add_f64 v[118:119], v[122:123], v[94:95]
	v_fma_f64 v[96:97], v[158:159], 2.0, -v[76:77]
	v_fma_f64 v[98:99], v[160:161], 2.0, -v[78:79]
	;; [unrolled: 1-line block ×6, first 2 shown]
	s_and_saveexec_b64 s[6:7], s[0:1]
	s_cbranch_execz .LBB0_11
; %bb.10:
	v_fma_f64 v[130:131], v[120:121], 2.0, -v[102:103]
	v_fma_f64 v[128:129], v[74:75], 2.0, -v[100:101]
	;; [unrolled: 1-line block ×10, first 2 shown]
	v_mul_u32_u24_e32 v64, 0xd0, v143
	v_or_b32_e32 v64, v64, v144
	v_lshlrev_b32_e32 v64, 4, v64
	ds_write_b128 v64, v[128:131]
	ds_write_b128 v64, v[60:63] offset:208
	ds_write_b128 v64, v[124:127] offset:416
	ds_write_b128 v64, v[68:71] offset:624
	ds_write_b128 v64, v[120:123] offset:832
	ds_write_b128 v64, v[96:99] offset:1040
	ds_write_b128 v64, v[88:91] offset:1248
	ds_write_b128 v64, v[92:95] offset:1456
	ds_write_b128 v64, v[100:103] offset:1664
	ds_write_b128 v64, v[104:107] offset:1872
	ds_write_b128 v64, v[108:111] offset:2080
	ds_write_b128 v64, v[112:115] offset:2288
	ds_write_b128 v64, v[116:119] offset:2496
	ds_write_b128 v64, v[76:79] offset:2704
	ds_write_b128 v64, v[84:87] offset:2912
	ds_write_b128 v64, v[80:83] offset:3120
.LBB0_11:
	s_or_b64 exec, exec, s[6:7]
	v_lshlrev_b32_e32 v120, 6, v142
	s_load_dwordx4 s[4:7], s[4:5], 0x0
	s_waitcnt lgkmcnt(0)
	s_barrier
	global_load_dwordx4 v[72:75], v120, s[2:3] offset:3120
	global_load_dwordx4 v[68:71], v120, s[2:3] offset:3136
	global_load_dwordx4 v[64:67], v120, s[2:3] offset:3152
	global_load_dwordx4 v[60:63], v120, s[2:3] offset:3168
	ds_read_b128 v[120:123], v141
	ds_read_b128 v[124:127], v141 offset:3328
	ds_read_b128 v[128:131], v141 offset:6656
	;; [unrolled: 1-line block ×4, first 2 shown]
	s_mov_b32 s10, 0x134454ff
	s_mov_b32 s11, 0x3fee6f0e
	;; [unrolled: 1-line block ×10, first 2 shown]
	s_waitcnt vmcnt(3) lgkmcnt(3)
	v_mul_f64 v[146:147], v[126:127], v[74:75]
	v_mul_f64 v[148:149], v[124:125], v[74:75]
	s_waitcnt vmcnt(2) lgkmcnt(2)
	v_mul_f64 v[150:151], v[130:131], v[70:71]
	v_mul_f64 v[152:153], v[128:129], v[70:71]
	s_waitcnt vmcnt(1) lgkmcnt(1)
	v_mul_f64 v[154:155], v[134:135], v[66:67]
	s_waitcnt vmcnt(0) lgkmcnt(0)
	v_mul_f64 v[156:157], v[136:137], v[62:63]
	v_mul_f64 v[158:159], v[132:133], v[66:67]
	;; [unrolled: 1-line block ×3, first 2 shown]
	v_fma_f64 v[124:125], v[124:125], v[72:73], -v[146:147]
	v_fma_f64 v[126:127], v[126:127], v[72:73], v[148:149]
	v_fma_f64 v[128:129], v[128:129], v[68:69], -v[150:151]
	v_fma_f64 v[130:131], v[130:131], v[68:69], v[152:153]
	;; [unrolled: 2-line block ×3, first 2 shown]
	v_fma_f64 v[134:135], v[134:135], v[64:65], v[158:159]
	v_fma_f64 v[136:137], v[136:137], v[60:61], -v[160:161]
	v_add_f64 v[146:147], v[120:121], v[124:125]
	v_add_f64 v[164:165], v[122:123], v[126:127]
	v_add_f64 v[154:155], v[124:125], -v[128:129]
	v_add_f64 v[160:161], v[128:129], -v[124:125]
	v_add_f64 v[148:149], v[128:129], v[132:133]
	v_add_f64 v[174:175], v[126:127], v[138:139]
	v_add_f64 v[166:167], v[130:131], v[134:135]
	v_add_f64 v[156:157], v[136:137], -v[132:133]
	v_add_f64 v[158:159], v[124:125], v[136:137]
	v_add_f64 v[150:151], v[126:127], -v[138:139]
	v_add_f64 v[152:153], v[130:131], -v[134:135]
	;; [unrolled: 1-line block ×7, first 2 shown]
	v_add_f64 v[128:129], v[146:147], v[128:129]
	v_fma_f64 v[146:147], v[148:149], -0.5, v[120:121]
	v_add_f64 v[148:149], v[154:155], v[156:157]
	v_fma_f64 v[120:121], v[158:159], -0.5, v[120:121]
	;; [unrolled: 2-line block ×3, first 2 shown]
	v_fma_f64 v[122:123], v[174:175], -0.5, v[122:123]
	v_add_f64 v[172:173], v[138:139], -v[134:135]
	v_add_f64 v[176:177], v[134:135], -v[138:139]
	v_add_f64 v[154:155], v[160:161], v[162:163]
	v_add_f64 v[128:129], v[128:129], v[132:133]
	v_fma_f64 v[132:133], v[150:151], s[10:11], v[146:147]
	v_fma_f64 v[146:147], v[150:151], s[16:17], v[146:147]
	;; [unrolled: 1-line block ×4, first 2 shown]
	v_add_f64 v[130:131], v[130:131], v[134:135]
	v_fma_f64 v[134:135], v[124:125], s[16:17], v[156:157]
	v_fma_f64 v[156:157], v[124:125], s[10:11], v[156:157]
	;; [unrolled: 1-line block ×4, first 2 shown]
	v_add_f64 v[158:159], v[170:171], v[172:173]
	v_add_f64 v[126:127], v[126:127], v[176:177]
	v_fma_f64 v[132:133], v[152:153], s[2:3], v[132:133]
	v_fma_f64 v[146:147], v[152:153], s[18:19], v[146:147]
	;; [unrolled: 1-line block ×8, first 2 shown]
	v_add_f64 v[128:129], v[128:129], v[136:137]
	v_add_f64 v[130:131], v[130:131], v[138:139]
	v_fma_f64 v[136:137], v[148:149], s[8:9], v[132:133]
	v_fma_f64 v[120:121], v[148:149], s[8:9], v[146:147]
	;; [unrolled: 1-line block ×8, first 2 shown]
	ds_write_b128 v141, v[128:131]
	ds_write_b128 v141, v[136:139] offset:3328
	ds_write_b128 v141, v[132:135] offset:6656
	;; [unrolled: 1-line block ×4, first 2 shown]
	s_waitcnt lgkmcnt(0)
	s_barrier
	s_and_saveexec_b64 s[8:9], vcc
	s_cbranch_execz .LBB0_13
; %bb.12:
	s_add_u32 s10, s14, 0x4100
	s_addc_u32 s11, s15, 0
	ds_read_b128 v[148:151], v141
	global_load_dwordx4 v[152:155], v141, s[10:11]
	v_add_co_u32_e64 v146, s[2:3], s10, v141
	v_mov_b32_e32 v147, s11
	v_addc_co_u32_e64 v147, s[2:3], 0, v147, s[2:3]
	s_movk_i32 s2, 0x1000
	v_add_co_u32_e64 v160, s[2:3], s2, v146
	v_addc_co_u32_e64 v161, s[2:3], 0, v147, s[2:3]
	s_movk_i32 s2, 0x2000
	s_waitcnt vmcnt(0) lgkmcnt(0)
	v_mul_f64 v[156:157], v[150:151], v[154:155]
	v_fma_f64 v[156:157], v[148:149], v[152:153], -v[156:157]
	v_mul_f64 v[148:149], v[148:149], v[154:155]
	v_fma_f64 v[158:159], v[150:151], v[152:153], v[148:149]
	ds_read_b128 v[148:151], v141 offset:1280
	global_load_dwordx4 v[152:155], v141, s[10:11] offset:1280
	ds_write_b128 v141, v[156:159]
	s_waitcnt vmcnt(0) lgkmcnt(1)
	v_mul_f64 v[156:157], v[150:151], v[154:155]
	v_fma_f64 v[156:157], v[148:149], v[152:153], -v[156:157]
	v_mul_f64 v[148:149], v[148:149], v[154:155]
	v_fma_f64 v[158:159], v[150:151], v[152:153], v[148:149]
	ds_read_b128 v[148:151], v141 offset:2560
	global_load_dwordx4 v[152:155], v141, s[10:11] offset:2560
	ds_write_b128 v141, v[156:159] offset:1280
	s_waitcnt vmcnt(0) lgkmcnt(1)
	v_mul_f64 v[156:157], v[150:151], v[154:155]
	v_fma_f64 v[156:157], v[148:149], v[152:153], -v[156:157]
	v_mul_f64 v[148:149], v[148:149], v[154:155]
	v_fma_f64 v[158:159], v[150:151], v[152:153], v[148:149]
	ds_read_b128 v[148:151], v141 offset:3840
	global_load_dwordx4 v[152:155], v141, s[10:11] offset:3840
	ds_write_b128 v141, v[156:159] offset:2560
	s_waitcnt vmcnt(0) lgkmcnt(1)
	v_mul_f64 v[156:157], v[150:151], v[154:155]
	v_fma_f64 v[156:157], v[148:149], v[152:153], -v[156:157]
	v_mul_f64 v[148:149], v[148:149], v[154:155]
	v_fma_f64 v[158:159], v[150:151], v[152:153], v[148:149]
	global_load_dwordx4 v[152:155], v[160:161], off offset:1024
	ds_read_b128 v[148:151], v141 offset:5120
	ds_write_b128 v141, v[156:159] offset:3840
	s_waitcnt vmcnt(0) lgkmcnt(1)
	v_mul_f64 v[156:157], v[150:151], v[154:155]
	v_fma_f64 v[156:157], v[148:149], v[152:153], -v[156:157]
	v_mul_f64 v[148:149], v[148:149], v[154:155]
	v_fma_f64 v[158:159], v[150:151], v[152:153], v[148:149]
	global_load_dwordx4 v[152:155], v[160:161], off offset:2304
	ds_read_b128 v[148:151], v141 offset:6400
	;; [unrolled: 8-line block ×3, first 2 shown]
	v_add_co_u32_e64 v160, s[2:3], s2, v146
	v_addc_co_u32_e64 v161, s[2:3], 0, v147, s[2:3]
	s_movk_i32 s2, 0x3000
	ds_write_b128 v141, v[156:159] offset:6400
	s_waitcnt vmcnt(0) lgkmcnt(1)
	v_mul_f64 v[156:157], v[150:151], v[154:155]
	v_fma_f64 v[156:157], v[148:149], v[152:153], -v[156:157]
	v_mul_f64 v[148:149], v[148:149], v[154:155]
	v_fma_f64 v[158:159], v[150:151], v[152:153], v[148:149]
	global_load_dwordx4 v[152:155], v[160:161], off offset:768
	ds_read_b128 v[148:151], v141 offset:8960
	ds_write_b128 v141, v[156:159] offset:7680
	s_waitcnt vmcnt(0) lgkmcnt(1)
	v_mul_f64 v[156:157], v[150:151], v[154:155]
	v_fma_f64 v[156:157], v[148:149], v[152:153], -v[156:157]
	v_mul_f64 v[148:149], v[148:149], v[154:155]
	v_fma_f64 v[158:159], v[150:151], v[152:153], v[148:149]
	v_or_b32_e32 v152, 0x2800, v141
	global_load_dwordx4 v[152:155], v152, s[10:11]
	ds_read_b128 v[148:151], v141 offset:10240
	ds_write_b128 v141, v[156:159] offset:8960
	s_waitcnt vmcnt(0) lgkmcnt(1)
	v_mul_f64 v[156:157], v[150:151], v[154:155]
	v_fma_f64 v[156:157], v[148:149], v[152:153], -v[156:157]
	v_mul_f64 v[148:149], v[148:149], v[154:155]
	v_fma_f64 v[158:159], v[150:151], v[152:153], v[148:149]
	global_load_dwordx4 v[152:155], v[160:161], off offset:3328
	ds_read_b128 v[148:151], v141 offset:11520
	ds_write_b128 v141, v[156:159] offset:10240
	s_waitcnt vmcnt(0) lgkmcnt(1)
	v_mul_f64 v[156:157], v[150:151], v[154:155]
	v_fma_f64 v[156:157], v[148:149], v[152:153], -v[156:157]
	v_mul_f64 v[148:149], v[148:149], v[154:155]
	v_fma_f64 v[158:159], v[150:151], v[152:153], v[148:149]
	ds_read_b128 v[148:151], v141 offset:12800
	ds_write_b128 v141, v[156:159] offset:11520
	v_add_co_u32_e64 v158, s[2:3], s2, v146
	v_addc_co_u32_e64 v159, s[2:3], 0, v147, s[2:3]
	global_load_dwordx4 v[152:155], v[158:159], off offset:512
	s_waitcnt vmcnt(0) lgkmcnt(1)
	v_mul_f64 v[146:147], v[150:151], v[154:155]
	v_fma_f64 v[146:147], v[148:149], v[152:153], -v[146:147]
	v_mul_f64 v[148:149], v[148:149], v[154:155]
	v_fma_f64 v[148:149], v[150:151], v[152:153], v[148:149]
	global_load_dwordx4 v[150:153], v[158:159], off offset:1792
	ds_write_b128 v141, v[146:149] offset:12800
	ds_read_b128 v[146:149], v141 offset:14080
	s_waitcnt vmcnt(0) lgkmcnt(0)
	v_mul_f64 v[154:155], v[148:149], v[152:153]
	v_fma_f64 v[154:155], v[146:147], v[150:151], -v[154:155]
	v_mul_f64 v[146:147], v[146:147], v[152:153]
	v_fma_f64 v[156:157], v[148:149], v[150:151], v[146:147]
	global_load_dwordx4 v[150:153], v[158:159], off offset:3072
	ds_read_b128 v[146:149], v141 offset:15360
	ds_write_b128 v141, v[154:157] offset:14080
	s_waitcnt vmcnt(0) lgkmcnt(1)
	v_mul_f64 v[154:155], v[148:149], v[152:153]
	v_fma_f64 v[154:155], v[146:147], v[150:151], -v[154:155]
	v_mul_f64 v[146:147], v[146:147], v[152:153]
	v_fma_f64 v[156:157], v[148:149], v[150:151], v[146:147]
	ds_write_b128 v141, v[154:157] offset:15360
.LBB0_13:
	s_or_b64 exec, exec, s[8:9]
	s_waitcnt lgkmcnt(0)
	s_barrier
	s_and_saveexec_b64 s[2:3], vcc
	s_cbranch_execz .LBB0_15
; %bb.14:
	ds_read_b128 v[128:131], v141
	ds_read_b128 v[136:139], v141 offset:1280
	ds_read_b128 v[132:135], v141 offset:2560
	;; [unrolled: 1-line block ×12, first 2 shown]
.LBB0_15:
	s_or_b64 exec, exec, s[2:3]
	s_waitcnt lgkmcnt(11)
	v_add_f64 v[146:147], v[128:129], v[136:137]
	v_add_f64 v[148:149], v[130:131], v[138:139]
	s_waitcnt lgkmcnt(0)
	v_add_f64 v[152:153], v[118:119], v[138:139]
	v_add_f64 v[138:139], v[138:139], -v[118:119]
	s_mov_b32 s26, 0x4267c47c
	s_mov_b32 s16, 0xe00740e9
	;; [unrolled: 1-line block ×4, first 2 shown]
	v_add_f64 v[146:147], v[132:133], v[146:147]
	v_add_f64 v[148:149], v[134:135], v[148:149]
	s_mov_b32 s36, 0x24c2f84
	s_mov_b32 s38, 0xd0032e0c
	;; [unrolled: 1-line block ×6, first 2 shown]
	v_add_f64 v[146:147], v[124:125], v[146:147]
	v_add_f64 v[148:149], v[126:127], v[148:149]
	s_mov_b32 s37, 0xbfe5384d
	s_mov_b32 s39, 0xbfe7f3cc
	v_add_f64 v[150:151], v[116:117], v[136:137]
	v_add_f64 v[136:137], v[136:137], -v[116:117]
	v_mul_f64 v[154:155], v[138:139], s[26:27]
	v_mul_f64 v[156:157], v[152:153], s[16:17]
	v_add_f64 v[146:147], v[120:121], v[146:147]
	v_add_f64 v[148:149], v[122:123], v[148:149]
	v_mul_f64 v[166:167], v[138:139], s[28:29]
	v_mul_f64 v[168:169], v[152:153], s[30:31]
	;; [unrolled: 1-line block ×4, first 2 shown]
	v_add_f64 v[190:191], v[114:115], v[134:135]
	s_mov_b32 s10, 0x42a4c3d2
	v_add_f64 v[146:147], v[96:97], v[146:147]
	v_add_f64 v[148:149], v[98:99], v[148:149]
	s_mov_b32 s18, 0x1ea71119
	s_mov_b32 s2, 0x66966769
	s_mov_b32 s8, 0xebaa3ed8
	s_mov_b32 s42, 0x4bc48dbf
	s_mov_b32 s44, 0x93053d00
	s_mov_b32 s23, 0x3fddbe06
	v_add_f64 v[146:147], v[88:89], v[146:147]
	v_add_f64 v[148:149], v[90:91], v[148:149]
	s_mov_b32 s11, 0xbfea55e2
	s_mov_b32 s19, 0x3fe22d96
	s_mov_b32 s3, 0xbfefc445
	s_mov_b32 s9, 0x3fbedb7d
	s_mov_b32 s35, 0x3fedeba7
	;; [unrolled: 8-line block ×3, first 2 shown]
	v_mul_f64 v[158:159], v[138:139], s[10:11]
	v_add_f64 v[146:147], v[100:101], v[146:147]
	v_add_f64 v[148:149], v[102:103], v[148:149]
	v_mul_f64 v[160:161], v[152:153], s[18:19]
	v_mul_f64 v[162:163], v[138:139], s[2:3]
	;; [unrolled: 1-line block ×3, first 2 shown]
	v_fma_f64 v[174:175], v[150:151], s[16:17], v[154:155]
	v_fma_f64 v[176:177], v[136:137], s[22:23], v[156:157]
	;; [unrolled: 1-line block ×3, first 2 shown]
	v_add_f64 v[146:147], v[104:105], v[146:147]
	v_add_f64 v[148:149], v[106:107], v[148:149]
	v_fma_f64 v[188:189], v[136:137], s[40:41], v[172:173]
	v_mul_f64 v[138:139], v[138:139], s[42:43]
	v_fma_f64 v[172:173], v[136:137], s[36:37], v[172:173]
	v_add_f64 v[192:193], v[112:113], v[132:133]
	v_mul_f64 v[194:195], v[190:191], s[18:19]
	s_mov_b32 s25, 0x3fea55e2
	v_add_f64 v[146:147], v[108:109], v[146:147]
	v_add_f64 v[148:149], v[110:111], v[148:149]
	s_mov_b32 s21, 0x3fefc445
	s_mov_b32 s24, s10
	;; [unrolled: 1-line block ×5, first 2 shown]
	v_fma_f64 v[154:155], v[150:151], s[16:17], -v[154:155]
	v_add_f64 v[146:147], v[112:113], v[146:147]
	v_add_f64 v[148:149], v[114:115], v[148:149]
	v_add_f64 v[114:115], v[134:135], -v[114:115]
	v_mul_f64 v[134:135], v[152:153], s[44:45]
	v_add_f64 v[112:113], v[132:133], -v[112:113]
	v_fma_f64 v[156:157], v[136:137], s[26:27], v[156:157]
	v_fma_f64 v[178:179], v[150:151], s[18:19], v[158:159]
	;; [unrolled: 1-line block ×3, first 2 shown]
	v_add_f64 v[116:117], v[116:117], v[146:147]
	v_add_f64 v[118:119], v[118:119], v[148:149]
	v_fma_f64 v[146:147], v[136:137], s[34:35], v[168:169]
	v_fma_f64 v[148:149], v[150:151], s[30:31], -v[166:167]
	v_fma_f64 v[166:167], v[136:137], s[28:29], v[168:169]
	v_fma_f64 v[168:169], v[150:151], s[38:39], v[170:171]
	v_fma_f64 v[170:171], v[150:151], s[38:39], -v[170:171]
	v_mul_f64 v[132:133], v[114:115], s[10:11]
	v_fma_f64 v[158:159], v[150:151], s[18:19], -v[158:159]
	v_fma_f64 v[160:161], v[136:137], s[10:11], v[160:161]
	v_fma_f64 v[182:183], v[150:151], s[8:9], v[162:163]
	;; [unrolled: 1-line block ×3, first 2 shown]
	v_fma_f64 v[162:163], v[150:151], s[8:9], -v[162:163]
	v_fma_f64 v[164:165], v[136:137], s[2:3], v[164:165]
	v_add_f64 v[174:175], v[128:129], v[174:175]
	v_add_f64 v[176:177], v[130:131], v[176:177]
	v_fma_f64 v[152:153], v[150:151], s[44:45], v[138:139]
	v_fma_f64 v[196:197], v[136:137], s[46:47], v[134:135]
	v_fma_f64 v[138:139], v[150:151], s[44:45], -v[138:139]
	v_fma_f64 v[134:135], v[136:137], s[42:43], v[134:135]
	v_add_f64 v[136:137], v[128:129], v[170:171]
	v_add_f64 v[150:151], v[130:131], v[172:173]
	v_fma_f64 v[170:171], v[192:193], s[18:19], v[132:133]
	v_fma_f64 v[172:173], v[112:113], s[24:25], v[194:195]
	v_add_f64 v[154:155], v[128:129], v[154:155]
	v_add_f64 v[156:157], v[130:131], v[156:157]
	;; [unrolled: 1-line block ×20, first 2 shown]
	v_mul_f64 v[134:135], v[114:115], s[28:29]
	v_mul_f64 v[138:139], v[190:191], s[30:31]
	v_add_f64 v[170:171], v[170:171], v[174:175]
	v_add_f64 v[172:173], v[172:173], v[176:177]
	v_fma_f64 v[132:133], v[192:193], s[18:19], -v[132:133]
	v_fma_f64 v[174:175], v[112:113], s[10:11], v[194:195]
	v_mul_f64 v[176:177], v[114:115], s[42:43]
	v_mul_f64 v[194:195], v[190:191], s[44:45]
	v_fma_f64 v[198:199], v[192:193], s[30:31], v[134:135]
	v_fma_f64 v[200:201], v[112:113], s[34:35], v[138:139]
	v_fma_f64 v[134:135], v[192:193], s[30:31], -v[134:135]
	v_fma_f64 v[138:139], v[112:113], s[28:29], v[138:139]
	v_add_f64 v[132:133], v[132:133], v[154:155]
	v_add_f64 v[154:155], v[174:175], v[156:157]
	v_fma_f64 v[156:157], v[192:193], s[44:45], v[176:177]
	v_fma_f64 v[174:175], v[112:113], s[46:47], v[194:195]
	v_add_f64 v[178:179], v[198:199], v[178:179]
	v_add_f64 v[180:181], v[200:201], v[180:181]
	v_add_f64 v[134:135], v[134:135], v[158:159]
	v_add_f64 v[138:139], v[138:139], v[160:161]
	v_mul_f64 v[158:159], v[114:115], s[40:41]
	v_mul_f64 v[160:161], v[190:191], s[38:39]
	v_add_f64 v[156:157], v[156:157], v[182:183]
	v_mul_f64 v[182:183], v[114:115], s[20:21]
	v_add_f64 v[174:175], v[174:175], v[184:185]
	v_mul_f64 v[184:185], v[190:191], s[8:9]
	v_fma_f64 v[176:177], v[192:193], s[44:45], -v[176:177]
	v_fma_f64 v[194:195], v[112:113], s[42:43], v[194:195]
	v_fma_f64 v[198:199], v[192:193], s[38:39], v[158:159]
	;; [unrolled: 1-line block ×3, first 2 shown]
	v_fma_f64 v[158:159], v[192:193], s[38:39], -v[158:159]
	v_fma_f64 v[160:161], v[112:113], s[40:41], v[160:161]
	v_fma_f64 v[202:203], v[192:193], s[8:9], v[182:183]
	;; [unrolled: 1-line block ×3, first 2 shown]
	v_add_f64 v[162:163], v[176:177], v[162:163]
	v_mul_f64 v[114:115], v[114:115], s[22:23]
	v_add_f64 v[176:177], v[198:199], v[186:187]
	v_fma_f64 v[182:183], v[192:193], s[8:9], -v[182:183]
	v_add_f64 v[148:149], v[158:159], v[148:149]
	v_add_f64 v[158:159], v[160:161], v[166:167]
	;; [unrolled: 1-line block ×3, first 2 shown]
	v_add_f64 v[168:169], v[126:127], -v[110:111]
	v_add_f64 v[110:111], v[110:111], v[126:127]
	v_add_f64 v[166:167], v[204:205], v[188:189]
	v_mul_f64 v[126:127], v[190:191], s[16:17]
	v_fma_f64 v[184:185], v[112:113], s[20:21], v[184:185]
	v_add_f64 v[186:187], v[108:109], v[124:125]
	v_add_f64 v[108:109], v[124:125], -v[108:109]
	v_add_f64 v[164:165], v[194:195], v[164:165]
	v_mul_f64 v[124:125], v[168:169], s[2:3]
	v_mul_f64 v[188:189], v[110:111], s[8:9]
	v_fma_f64 v[190:191], v[192:193], s[16:17], v[114:115]
	v_fma_f64 v[194:195], v[112:113], s[26:27], v[126:127]
	v_fma_f64 v[114:115], v[192:193], s[16:17], -v[114:115]
	v_fma_f64 v[112:113], v[112:113], s[22:23], v[126:127]
	v_add_f64 v[126:127], v[182:183], v[136:137]
	v_add_f64 v[136:137], v[184:185], v[150:151]
	v_fma_f64 v[150:151], v[186:187], s[8:9], v[124:125]
	v_fma_f64 v[182:183], v[108:109], s[20:21], v[188:189]
	v_fma_f64 v[124:125], v[186:187], s[8:9], -v[124:125]
	v_add_f64 v[152:153], v[190:191], v[152:153]
	v_add_f64 v[114:115], v[114:115], v[128:129]
	v_mul_f64 v[128:129], v[168:169], s[42:43]
	v_add_f64 v[112:113], v[112:113], v[130:131]
	v_mul_f64 v[130:131], v[110:111], s[44:45]
	v_add_f64 v[150:151], v[150:151], v[170:171]
	v_add_f64 v[170:171], v[182:183], v[172:173]
	v_fma_f64 v[172:173], v[108:109], s[2:3], v[188:189]
	v_mul_f64 v[182:183], v[168:169], s[34:35]
	v_mul_f64 v[188:189], v[110:111], s[30:31]
	v_fma_f64 v[190:191], v[186:187], s[44:45], v[128:129]
	v_fma_f64 v[128:129], v[186:187], s[44:45], -v[128:129]
	v_add_f64 v[124:125], v[124:125], v[132:133]
	v_fma_f64 v[192:193], v[108:109], s[46:47], v[130:131]
	v_fma_f64 v[130:131], v[108:109], s[42:43], v[130:131]
	v_add_f64 v[132:133], v[172:173], v[154:155]
	v_fma_f64 v[154:155], v[186:187], s[30:31], v[182:183]
	v_fma_f64 v[172:173], v[108:109], s[28:29], v[188:189]
	v_add_f64 v[184:185], v[194:195], v[196:197]
	v_add_f64 v[128:129], v[128:129], v[134:135]
	v_mul_f64 v[134:135], v[168:169], s[22:23]
	v_add_f64 v[178:179], v[190:191], v[178:179]
	v_add_f64 v[130:131], v[130:131], v[138:139]
	v_mul_f64 v[138:139], v[110:111], s[16:17]
	;; [unrolled: 3-line block ×3, first 2 shown]
	v_mul_f64 v[174:175], v[110:111], s[18:19]
	v_fma_f64 v[190:191], v[186:187], s[16:17], v[134:135]
	v_fma_f64 v[134:135], v[186:187], s[16:17], -v[134:135]
	v_add_f64 v[180:181], v[192:193], v[180:181]
	v_fma_f64 v[192:193], v[108:109], s[26:27], v[138:139]
	v_fma_f64 v[138:139], v[108:109], s[22:23], v[138:139]
	v_fma_f64 v[182:183], v[186:187], s[30:31], -v[182:183]
	v_fma_f64 v[194:195], v[186:187], s[18:19], v[172:173]
	v_fma_f64 v[196:197], v[108:109], s[24:25], v[174:175]
	;; [unrolled: 1-line block ×3, first 2 shown]
	v_add_f64 v[134:135], v[134:135], v[148:149]
	v_mul_f64 v[110:111], v[110:111], s[38:39]
	v_add_f64 v[146:147], v[200:201], v[146:147]
	v_add_f64 v[138:139], v[138:139], v[158:159]
	;; [unrolled: 1-line block ×4, first 2 shown]
	v_add_f64 v[160:161], v[122:123], -v[106:107]
	v_add_f64 v[106:107], v[106:107], v[122:123]
	v_add_f64 v[158:159], v[196:197], v[166:167]
	v_mul_f64 v[122:123], v[168:169], s[36:37]
	v_fma_f64 v[166:167], v[186:187], s[18:19], -v[172:173]
	v_fma_f64 v[168:169], v[108:109], s[10:11], v[174:175]
	v_add_f64 v[172:173], v[104:105], v[120:121]
	v_add_f64 v[104:105], v[120:121], -v[104:105]
	v_mul_f64 v[120:121], v[160:161], s[28:29]
	v_mul_f64 v[174:175], v[106:107], s[30:31]
	v_add_f64 v[164:165], v[188:189], v[164:165]
	v_fma_f64 v[182:183], v[186:187], s[38:39], v[122:123]
	v_fma_f64 v[188:189], v[108:109], s[40:41], v[110:111]
	v_fma_f64 v[122:123], v[186:187], s[38:39], -v[122:123]
	v_fma_f64 v[108:109], v[108:109], s[36:37], v[110:111]
	v_add_f64 v[110:111], v[166:167], v[126:127]
	v_add_f64 v[126:127], v[168:169], v[136:137]
	v_fma_f64 v[136:137], v[172:173], s[30:31], v[120:121]
	v_fma_f64 v[166:167], v[104:105], s[34:35], v[174:175]
	v_fma_f64 v[120:121], v[172:173], s[30:31], -v[120:121]
	v_add_f64 v[152:153], v[182:183], v[152:153]
	v_add_f64 v[114:115], v[122:123], v[114:115]
	;; [unrolled: 1-line block ×3, first 2 shown]
	v_mul_f64 v[112:113], v[160:161], s[40:41]
	v_mul_f64 v[122:123], v[106:107], s[38:39]
	v_add_f64 v[136:137], v[136:137], v[150:151]
	v_add_f64 v[150:151], v[166:167], v[170:171]
	v_fma_f64 v[166:167], v[104:105], s[28:29], v[174:175]
	v_mul_f64 v[170:171], v[160:161], s[22:23]
	v_mul_f64 v[174:175], v[106:107], s[16:17]
	v_add_f64 v[168:169], v[188:189], v[184:185]
	v_fma_f64 v[182:183], v[172:173], s[38:39], v[112:113]
	v_fma_f64 v[184:185], v[104:105], s[36:37], v[122:123]
	v_fma_f64 v[112:113], v[172:173], s[38:39], -v[112:113]
	v_fma_f64 v[122:123], v[104:105], s[40:41], v[122:123]
	v_add_f64 v[120:121], v[120:121], v[124:125]
	v_add_f64 v[124:125], v[166:167], v[132:133]
	v_fma_f64 v[132:133], v[172:173], s[16:17], v[170:171]
	v_fma_f64 v[166:167], v[104:105], s[26:27], v[174:175]
	v_add_f64 v[178:179], v[182:183], v[178:179]
	v_add_f64 v[180:181], v[184:185], v[180:181]
	;; [unrolled: 1-line block ×4, first 2 shown]
	v_mul_f64 v[128:129], v[160:161], s[2:3]
	v_mul_f64 v[130:131], v[106:107], s[8:9]
	v_add_f64 v[132:133], v[132:133], v[154:155]
	v_add_f64 v[154:155], v[166:167], v[156:157]
	v_fma_f64 v[156:157], v[172:173], s[16:17], -v[170:171]
	v_fma_f64 v[166:167], v[104:105], s[22:23], v[174:175]
	v_mul_f64 v[170:171], v[160:161], s[46:47]
	v_mul_f64 v[174:175], v[106:107], s[44:45]
	v_fma_f64 v[182:183], v[172:173], s[8:9], v[128:129]
	v_fma_f64 v[184:185], v[104:105], s[20:21], v[130:131]
	v_fma_f64 v[128:129], v[172:173], s[8:9], -v[128:129]
	v_fma_f64 v[130:131], v[104:105], s[2:3], v[130:131]
	v_add_f64 v[156:157], v[156:157], v[162:163]
	v_add_f64 v[162:163], v[166:167], v[164:165]
	v_fma_f64 v[164:165], v[172:173], s[44:45], v[170:171]
	v_fma_f64 v[166:167], v[104:105], s[42:43], v[174:175]
	v_mul_f64 v[106:107], v[106:107], s[18:19]
	v_add_f64 v[146:147], v[192:193], v[146:147]
	v_add_f64 v[128:129], v[128:129], v[134:135]
	;; [unrolled: 1-line block ×3, first 2 shown]
	v_mul_f64 v[134:135], v[160:161], s[24:25]
	v_fma_f64 v[160:161], v[104:105], s[46:47], v[174:175]
	v_add_f64 v[138:139], v[164:165], v[148:149]
	v_add_f64 v[148:149], v[166:167], v[158:159]
	v_add_f64 v[158:159], v[98:99], -v[102:103]
	v_add_f64 v[98:99], v[102:103], v[98:99]
	v_fma_f64 v[102:103], v[172:173], s[44:45], -v[170:171]
	v_add_f64 v[170:171], v[100:101], v[96:97]
	v_fma_f64 v[164:165], v[172:173], s[18:19], v[134:135]
	v_add_f64 v[96:97], v[96:97], -v[100:101]
	v_fma_f64 v[166:167], v[104:105], s[10:11], v[106:107]
	v_fma_f64 v[134:135], v[172:173], s[18:19], -v[134:135]
	v_mul_f64 v[100:101], v[158:159], s[36:37]
	v_mul_f64 v[174:175], v[98:99], s[38:39]
	v_fma_f64 v[104:105], v[104:105], s[24:25], v[106:107]
	v_add_f64 v[102:103], v[102:103], v[110:111]
	v_add_f64 v[106:107], v[160:161], v[126:127]
	;; [unrolled: 1-line block ×5, first 2 shown]
	v_fma_f64 v[152:153], v[170:171], s[38:39], v[100:101]
	v_fma_f64 v[160:161], v[96:97], s[40:41], v[174:175]
	v_add_f64 v[104:105], v[104:105], v[108:109]
	v_mul_f64 v[108:109], v[158:159], s[20:21]
	v_mul_f64 v[134:135], v[98:99], s[8:9]
	v_fma_f64 v[100:101], v[170:171], s[38:39], -v[100:101]
	v_fma_f64 v[164:165], v[96:97], s[36:37], v[174:175]
	v_mul_f64 v[174:175], v[98:99], s[44:45]
	v_add_f64 v[136:137], v[152:153], v[136:137]
	v_add_f64 v[150:151], v[160:161], v[150:151]
	v_mul_f64 v[152:153], v[158:159], s[10:11]
	v_mul_f64 v[160:161], v[98:99], s[18:19]
	v_fma_f64 v[166:167], v[170:171], s[8:9], v[108:109]
	v_fma_f64 v[168:169], v[96:97], s[2:3], v[134:135]
	v_add_f64 v[100:101], v[100:101], v[120:121]
	v_add_f64 v[120:121], v[164:165], v[124:125]
	v_fma_f64 v[108:109], v[170:171], s[8:9], -v[108:109]
	v_fma_f64 v[124:125], v[96:97], s[20:21], v[134:135]
	v_fma_f64 v[134:135], v[170:171], s[18:19], v[152:153]
	;; [unrolled: 1-line block ×3, first 2 shown]
	v_add_f64 v[146:147], v[184:185], v[146:147]
	v_mul_f64 v[172:173], v[158:159], s[46:47]
	v_add_f64 v[176:177], v[190:191], v[176:177]
	v_add_f64 v[166:167], v[166:167], v[178:179]
	;; [unrolled: 1-line block ×6, first 2 shown]
	v_fma_f64 v[154:155], v[96:97], s[42:43], v[174:175]
	v_mul_f64 v[164:165], v[98:99], s[16:17]
	v_fma_f64 v[134:135], v[96:97], s[10:11], v[160:161]
	v_fma_f64 v[122:123], v[170:171], s[18:19], -v[152:153]
	v_fma_f64 v[152:153], v[170:171], s[44:45], v[172:173]
	v_mul_f64 v[160:161], v[158:159], s[22:23]
	v_fma_f64 v[172:173], v[170:171], s[44:45], -v[172:173]
	v_fma_f64 v[174:175], v[96:97], s[46:47], v[174:175]
	v_add_f64 v[146:147], v[154:155], v[146:147]
	v_fma_f64 v[154:155], v[96:97], s[26:27], v[164:165]
	v_add_f64 v[134:135], v[134:135], v[162:163]
	v_fma_f64 v[162:163], v[96:97], s[22:23], v[164:165]
	v_mul_f64 v[158:159], v[158:159], s[28:29]
	v_mul_f64 v[98:99], v[98:99], s[30:31]
	v_add_f64 v[164:165], v[90:91], v[94:95]
	v_add_f64 v[156:157], v[122:123], v[156:157]
	v_fma_f64 v[122:123], v[170:171], s[16:17], v[160:161]
	v_add_f64 v[148:149], v[154:155], v[148:149]
	v_add_f64 v[154:155], v[90:91], -v[94:95]
	v_add_f64 v[128:129], v[172:173], v[128:129]
	v_add_f64 v[130:131], v[174:175], v[130:131]
	v_fma_f64 v[160:161], v[170:171], s[16:17], -v[160:161]
	v_fma_f64 v[90:91], v[170:171], s[30:31], v[158:159]
	v_fma_f64 v[94:95], v[96:97], s[34:35], v[98:99]
	v_add_f64 v[172:173], v[88:89], v[92:93]
	v_add_f64 v[174:175], v[88:89], -v[92:93]
	v_mul_f64 v[88:89], v[154:155], s[42:43]
	v_mul_f64 v[92:93], v[164:165], s[44:45]
	v_add_f64 v[176:177], v[182:183], v[176:177]
	v_add_f64 v[160:161], v[160:161], v[102:103]
	;; [unrolled: 1-line block ×3, first 2 shown]
	v_fma_f64 v[102:103], v[170:171], s[30:31], -v[158:159]
	v_fma_f64 v[96:97], v[96:97], s[28:29], v[98:99]
	v_add_f64 v[158:159], v[90:91], v[110:111]
	v_add_f64 v[170:171], v[94:95], v[126:127]
	v_mul_f64 v[94:95], v[154:155], s[22:23]
	v_mul_f64 v[98:99], v[164:165], s[16:17]
	v_fma_f64 v[90:91], v[172:173], s[44:45], v[88:89]
	v_fma_f64 v[106:107], v[174:175], s[46:47], v[92:93]
	;; [unrolled: 1-line block ×3, first 2 shown]
	v_add_f64 v[168:169], v[168:169], v[180:181]
	v_add_f64 v[152:153], v[152:153], v[176:177]
	;; [unrolled: 1-line block ×5, first 2 shown]
	v_fma_f64 v[96:97], v[172:173], s[44:45], -v[88:89]
	v_fma_f64 v[102:103], v[172:173], s[16:17], v[94:95]
	v_fma_f64 v[110:111], v[174:175], s[26:27], v[98:99]
	v_add_f64 v[88:89], v[90:91], v[136:137]
	v_add_f64 v[90:91], v[106:107], v[150:151]
	v_mul_f64 v[114:115], v[154:155], s[36:37]
	v_mul_f64 v[122:123], v[164:165], s[38:39]
	v_add_f64 v[106:107], v[92:93], v[120:121]
	v_fma_f64 v[92:93], v[172:173], s[16:17], -v[94:95]
	v_fma_f64 v[94:95], v[174:175], s[22:23], v[98:99]
	v_mul_f64 v[126:127], v[164:165], s[18:19]
	v_add_f64 v[104:105], v[96:97], v[100:101]
	v_add_f64 v[100:101], v[102:103], v[166:167]
	;; [unrolled: 1-line block ×3, first 2 shown]
	v_fma_f64 v[96:97], v[172:173], s[38:39], v[114:115]
	v_fma_f64 v[98:99], v[174:175], s[40:41], v[122:123]
	v_mul_f64 v[110:111], v[154:155], s[24:25]
	v_fma_f64 v[114:115], v[172:173], s[38:39], -v[114:115]
	v_fma_f64 v[136:137], v[174:175], s[36:37], v[122:123]
	v_add_f64 v[122:123], v[94:95], v[112:113]
	v_fma_f64 v[94:95], v[174:175], s[10:11], v[126:127]
	v_add_f64 v[120:121], v[92:93], v[108:109]
	v_mul_f64 v[112:113], v[154:155], s[28:29]
	v_add_f64 v[98:99], v[98:99], v[132:133]
	v_fma_f64 v[92:93], v[172:173], s[18:19], v[110:111]
	v_add_f64 v[132:133], v[114:115], v[156:157]
	v_add_f64 v[134:135], v[136:137], v[134:135]
	v_fma_f64 v[108:109], v[172:173], s[18:19], -v[110:111]
	v_fma_f64 v[110:111], v[174:175], s[24:25], v[126:127]
	v_mul_f64 v[114:115], v[164:165], s[30:31]
	v_add_f64 v[94:95], v[94:95], v[146:147]
	v_mul_f64 v[136:137], v[154:155], s[20:21]
	v_mul_f64 v[146:147], v[164:165], s[8:9]
	v_add_f64 v[96:97], v[96:97], v[124:125]
	v_add_f64 v[92:93], v[92:93], v[152:153]
	;; [unrolled: 1-line block ×4, first 2 shown]
	v_fma_f64 v[108:109], v[172:173], s[30:31], v[112:113]
	v_fma_f64 v[110:111], v[174:175], s[34:35], v[114:115]
	v_fma_f64 v[112:113], v[172:173], s[30:31], -v[112:113]
	v_fma_f64 v[114:115], v[174:175], s[28:29], v[114:115]
	v_fma_f64 v[128:129], v[172:173], s[8:9], v[136:137]
	v_fma_f64 v[130:131], v[174:175], s[2:3], v[146:147]
	v_fma_f64 v[150:151], v[172:173], s[8:9], -v[136:137]
	v_fma_f64 v[146:147], v[174:175], s[20:21], v[146:147]
	v_add_f64 v[108:109], v[108:109], v[138:139]
	v_add_f64 v[110:111], v[110:111], v[148:149]
	;; [unrolled: 1-line block ×8, first 2 shown]
	s_barrier
	s_and_saveexec_b64 s[2:3], vcc
	s_cbranch_execz .LBB0_17
; %bb.16:
	v_lshlrev_b32_e32 v145, 4, v145
	ds_write_b128 v145, v[116:119]
	ds_write_b128 v145, v[88:91] offset:16
	ds_write_b128 v145, v[100:103] offset:32
	;; [unrolled: 1-line block ×12, first 2 shown]
.LBB0_17:
	s_or_b64 exec, exec, s[2:3]
	s_waitcnt lgkmcnt(0)
	s_barrier
	s_and_saveexec_b64 s[2:3], s[0:1]
	s_cbranch_execz .LBB0_19
; %bb.18:
	ds_read_b128 v[116:119], v141
	ds_read_b128 v[88:91], v141 offset:1040
	ds_read_b128 v[100:103], v141 offset:2080
	;; [unrolled: 1-line block ×15, first 2 shown]
.LBB0_19:
	s_or_b64 exec, exec, s[2:3]
	s_waitcnt lgkmcnt(0)
	s_barrier
	s_and_saveexec_b64 s[2:3], s[0:1]
	s_cbranch_execz .LBB0_21
; %bb.20:
	v_mul_f64 v[145:146], v[18:19], v[100:101]
	v_mul_f64 v[147:148], v[42:43], v[132:133]
	;; [unrolled: 1-line block ×8, first 2 shown]
	v_fma_f64 v[145:146], v[16:17], v[102:103], -v[145:146]
	v_fma_f64 v[147:148], v[40:41], v[134:135], -v[147:148]
	v_fma_f64 v[149:150], v[32:33], v[136:137], v[149:150]
	v_fma_f64 v[151:152], v[56:57], v[84:85], v[151:152]
	v_fma_f64 v[153:154], v[12:13], v[114:115], -v[153:154]
	v_fma_f64 v[155:156], v[0:1], v[92:93], v[155:156]
	v_fma_f64 v[157:158], v[44:45], v[104:105], v[157:158]
	v_mul_f64 v[58:59], v[58:59], v[84:85]
	v_mul_f64 v[159:160], v[26:27], v[130:131]
	v_add_f64 v[136:137], v[145:146], -v[147:148]
	v_mul_f64 v[161:162], v[54:55], v[82:83]
	v_add_f64 v[147:148], v[149:150], -v[151:152]
	v_add_f64 v[84:85], v[118:119], -v[153:154]
	v_mul_f64 v[153:154], v[10:11], v[96:97]
	v_add_f64 v[151:152], v[155:156], -v[157:158]
	v_mul_f64 v[157:158], v[38:39], v[120:121]
	v_fma_f64 v[32:33], v[32:33], v[138:139], -v[34:35]
	v_fma_f64 v[34:35], v[56:57], v[86:87], -v[58:59]
	v_mul_f64 v[18:19], v[18:19], v[102:103]
	v_mul_f64 v[42:43], v[42:43], v[134:135]
	v_fma_f64 v[86:87], v[24:25], v[128:129], v[159:160]
	v_fma_f64 v[56:57], v[8:9], v[98:99], -v[153:154]
	v_fma_f64 v[102:103], v[52:53], v[80:81], v[161:162]
	v_fma_f64 v[58:59], v[36:37], v[122:123], -v[157:158]
	v_mul_f64 v[134:135], v[6:7], v[88:89]
	v_mul_f64 v[138:139], v[30:31], v[124:125]
	v_mul_f64 v[153:154], v[22:23], v[110:111]
	v_mul_f64 v[157:158], v[50:51], v[78:79]
	v_fma_f64 v[16:17], v[16:17], v[100:101], v[18:19]
	v_fma_f64 v[18:19], v[40:41], v[132:133], v[42:43]
	v_add_f64 v[42:43], v[86:87], -v[102:103]
	v_add_f64 v[40:41], v[56:57], -v[58:59]
	v_fma_f64 v[58:59], v[4:5], v[90:91], -v[134:135]
	v_fma_f64 v[100:101], v[28:29], v[126:127], -v[138:139]
	v_fma_f64 v[102:103], v[20:21], v[108:109], v[153:154]
	v_fma_f64 v[132:133], v[48:49], v[76:77], v[157:158]
	v_mul_f64 v[26:27], v[26:27], v[128:129]
	v_mul_f64 v[54:55], v[54:55], v[80:81]
	;; [unrolled: 1-line block ×8, first 2 shown]
	v_add_f64 v[100:101], v[58:59], -v[100:101]
	v_add_f64 v[132:133], v[102:103], -v[132:133]
	v_fma_f64 v[24:25], v[24:25], v[130:131], -v[26:27]
	v_fma_f64 v[26:27], v[52:53], v[82:83], -v[54:55]
	v_fma_f64 v[8:9], v[8:9], v[96:97], v[10:11]
	v_fma_f64 v[10:11], v[36:37], v[120:121], v[38:39]
	v_fma_f64 v[20:21], v[20:21], v[110:111], -v[22:23]
	v_fma_f64 v[22:23], v[48:49], v[78:79], -v[50:51]
	v_fma_f64 v[4:5], v[4:5], v[88:89], v[6:7]
	v_fma_f64 v[6:7], v[28:29], v[124:125], v[30:31]
	v_add_f64 v[134:135], v[136:137], -v[147:148]
	v_add_f64 v[138:139], v[84:85], -v[151:152]
	;; [unrolled: 1-line block ×5, first 2 shown]
	v_mul_f64 v[2:3], v[2:3], v[92:93]
	v_mul_f64 v[28:29], v[46:47], v[104:105]
	;; [unrolled: 1-line block ×3, first 2 shown]
	v_add_f64 v[30:31], v[100:101], -v[132:133]
	v_add_f64 v[26:27], v[24:25], -v[26:27]
	;; [unrolled: 1-line block ×5, first 2 shown]
	s_mov_b32 s0, 0x667f3bcd
	s_mov_b32 s1, 0x3fe6a09e
	v_fma_f64 v[0:1], v[0:1], v[94:95], -v[2:3]
	v_fma_f64 v[2:3], v[44:45], v[106:107], -v[28:29]
	v_fma_f64 v[6:7], v[12:13], v[112:113], v[14:15]
	v_fma_f64 v[12:13], v[134:135], s[0:1], v[138:139]
	v_add_f64 v[14:15], v[34:35], v[18:19]
	v_fma_f64 v[28:29], v[153:154], s[0:1], v[30:31]
	v_add_f64 v[38:39], v[26:27], v[10:11]
	v_add_f64 v[44:45], v[22:23], v[36:37]
	s_mov_b32 s9, 0xbfe6a09e
	s_mov_b32 s8, s0
	v_add_f64 v[2:3], v[0:1], -v[2:3]
	v_add_f64 v[46:47], v[116:117], -v[6:7]
	v_fma_f64 v[48:49], v[14:15], s[8:9], v[12:13]
	s_mov_b32 s10, 0xcf328d46
	v_fma_f64 v[28:29], v[38:39], s[8:9], v[28:29]
	v_fma_f64 v[6:7], v[38:39], s[0:1], v[44:45]
	s_mov_b32 s11, 0x3fed906b
	v_fma_f64 v[54:55], v[118:119], 2.0, -v[84:85]
	v_fma_f64 v[0:1], v[0:1], 2.0, -v[2:3]
	v_add_f64 v[50:51], v[46:47], v[2:3]
	v_fma_f64 v[16:17], v[16:17], 2.0, -v[18:19]
	v_fma_f64 v[76:77], v[149:150], 2.0, -v[147:148]
	v_fma_f64 v[12:13], v[28:29], s[10:11], v[48:49]
	v_fma_f64 v[52:53], v[153:154], s[0:1], v[6:7]
	v_fma_f64 v[58:59], v[58:59], 2.0, -v[100:101]
	v_fma_f64 v[20:21], v[20:21], 2.0, -v[22:23]
	;; [unrolled: 1-line block ×4, first 2 shown]
	s_mov_b32 s16, 0xa6aea964
	s_mov_b32 s17, 0xbfd87de2
	v_fma_f64 v[6:7], v[14:15], s[0:1], v[50:51]
	v_fma_f64 v[2:3], v[52:53], s[16:17], v[12:13]
	v_add_f64 v[78:79], v[54:55], -v[0:1]
	v_add_f64 v[12:13], v[16:17], -v[76:77]
	;; [unrolled: 1-line block ×4, first 2 shown]
	v_fma_f64 v[22:23], v[56:57], 2.0, -v[40:41]
	v_fma_f64 v[24:25], v[24:25], 2.0, -v[26:27]
	;; [unrolled: 1-line block ×16, first 2 shown]
	v_fma_f64 v[42:43], v[134:135], s[0:1], v[6:7]
	v_add_f64 v[80:81], v[78:79], -v[12:13]
	v_add_f64 v[82:83], v[76:77], -v[0:1]
	;; [unrolled: 1-line block ×6, first 2 shown]
	v_fma_f64 v[46:47], v[88:89], s[8:9], v[84:85]
	v_fma_f64 v[86:87], v[18:19], s[8:9], v[90:91]
	v_fma_f64 v[92:93], v[10:11], s[8:9], v[36:37]
	v_fma_f64 v[94:95], v[14:15], s[8:9], v[38:39]
	v_fma_f64 v[20:21], v[52:53], s[10:11], v[42:43]
	v_fma_f64 v[96:97], v[82:83], s[0:1], v[80:81]
	v_add_f64 v[98:99], v[24:25], v[40:41]
	v_add_f64 v[100:101], v[32:33], v[26:27]
	v_fma_f64 v[46:47], v[14:15], s[8:9], v[46:47]
	v_fma_f64 v[86:87], v[10:11], s[8:9], v[86:87]
	;; [unrolled: 1-line block ×4, first 2 shown]
	v_fma_f64 v[14:15], v[56:57], 2.0, -v[26:27]
	v_fma_f64 v[56:57], v[4:5], 2.0, -v[40:41]
	;; [unrolled: 1-line block ×3, first 2 shown]
	s_mov_b32 s19, 0x3fd87de2
	s_mov_b32 s18, s16
	v_fma_f64 v[54:55], v[54:55], 2.0, -v[78:79]
	v_fma_f64 v[0:1], v[28:29], s[18:19], v[20:21]
	v_fma_f64 v[10:11], v[98:99], s[8:9], v[96:97]
	;; [unrolled: 1-line block ×4, first 2 shown]
	v_add_f64 v[96:97], v[56:57], -v[4:5]
	v_fma_f64 v[34:35], v[34:35], 2.0, -v[32:33]
	v_fma_f64 v[4:5], v[16:17], 2.0, -v[12:13]
	;; [unrolled: 1-line block ×4, first 2 shown]
	v_fma_f64 v[8:9], v[98:99], s[0:1], v[100:101]
	s_mov_b32 s21, 0xbfed906b
	s_mov_b32 s20, s10
	v_fma_f64 v[6:7], v[48:49], 2.0, -v[2:3]
	v_add_f64 v[94:95], v[54:55], -v[14:15]
	v_fma_f64 v[14:15], v[92:93], s[20:21], v[18:19]
	v_fma_f64 v[12:13], v[86:87], s[10:11], v[20:21]
	v_add_f64 v[102:103], v[34:35], -v[4:5]
	v_add_f64 v[104:105], v[58:59], -v[16:17]
	v_fma_f64 v[48:49], v[138:139], 2.0, -v[48:49]
	v_fma_f64 v[28:29], v[30:31], 2.0, -v[28:29]
	;; [unrolled: 1-line block ×4, first 2 shown]
	v_fma_f64 v[8:9], v[82:83], s[0:1], v[8:9]
	v_fma_f64 v[22:23], v[80:81], 2.0, -v[10:11]
	v_fma_f64 v[80:81], v[84:85], 2.0, -v[46:47]
	;; [unrolled: 1-line block ×11, first 2 shown]
	v_fma_f64 v[106:107], v[28:29], s[16:17], v[48:49]
	v_fma_f64 v[32:33], v[76:77], s[8:9], v[78:79]
	v_fma_f64 v[88:89], v[54:55], 2.0, -v[94:95]
	v_fma_f64 v[46:47], v[58:59], 2.0, -v[104:105]
	;; [unrolled: 1-line block ×5, first 2 shown]
	v_fma_f64 v[42:43], v[82:83], s[20:21], v[80:81]
	v_fma_f64 v[54:55], v[36:37], s[20:21], v[52:53]
	;; [unrolled: 1-line block ×6, first 2 shown]
	v_add_f64 v[46:47], v[88:89], -v[46:47]
	v_add_f64 v[44:45], v[90:91], -v[50:51]
	v_fma_f64 v[42:43], v[36:37], s[16:17], v[42:43]
	v_fma_f64 v[40:41], v[82:83], s[18:19], v[54:55]
	;; [unrolled: 1-line block ×4, first 2 shown]
	v_add_f64 v[18:19], v[94:95], -v[96:97]
	v_add_f64 v[16:17], v[102:103], v[104:105]
	v_fma_f64 v[54:55], v[78:79], 2.0, -v[38:39]
	v_fma_f64 v[78:79], v[88:89], 2.0, -v[46:47]
	;; [unrolled: 1-line block ×10, first 2 shown]
	v_mul_u32_u24_e32 v80, 0xd0, v143
	v_fma_f64 v[20:21], v[100:101], 2.0, -v[8:9]
	v_or_b32_e32 v80, v80, v144
	v_lshlrev_b32_e32 v80, 4, v80
	ds_write_b128 v80, v[76:79]
	ds_write_b128 v80, v[56:59] offset:208
	ds_write_b128 v80, v[52:55] offset:416
	;; [unrolled: 1-line block ×15, first 2 shown]
.LBB0_21:
	s_or_b64 exec, exec, s[2:3]
	s_waitcnt lgkmcnt(0)
	s_barrier
	ds_read_b128 v[0:3], v141 offset:6656
	ds_read_b128 v[4:7], v141 offset:9984
	;; [unrolled: 1-line block ×4, first 2 shown]
	s_mov_b32 s0, 0x134454ff
	s_waitcnt lgkmcnt(3)
	v_mul_f64 v[16:17], v[70:71], v[2:3]
	s_waitcnt lgkmcnt(2)
	v_mul_f64 v[18:19], v[66:67], v[6:7]
	;; [unrolled: 2-line block ×3, first 2 shown]
	v_mul_f64 v[22:23], v[74:75], v[8:9]
	s_mov_b32 s1, 0xbfee6f0e
	s_mov_b32 s2, 0x4755a5e
	;; [unrolled: 1-line block ×4, first 2 shown]
	v_fma_f64 v[26:27], v[68:69], v[0:1], v[16:17]
	v_fma_f64 v[28:29], v[64:65], v[4:5], v[18:19]
	ds_read_b128 v[16:19], v141
	s_waitcnt lgkmcnt(1)
	v_mul_f64 v[24:25], v[62:63], v[12:13]
	v_mul_f64 v[0:1], v[70:71], v[0:1]
	;; [unrolled: 1-line block ×4, first 2 shown]
	v_fma_f64 v[8:9], v[72:73], v[8:9], v[20:21]
	v_fma_f64 v[10:11], v[72:73], v[10:11], -v[22:23]
	v_add_f64 v[20:21], v[26:27], v[28:29]
	s_mov_b32 s11, 0x3fee6f0e
	v_fma_f64 v[14:15], v[60:61], v[14:15], -v[24:25]
	v_fma_f64 v[2:3], v[68:69], v[2:3], -v[0:1]
	;; [unrolled: 1-line block ×3, first 2 shown]
	v_fma_f64 v[12:13], v[60:61], v[12:13], v[30:31]
	s_waitcnt lgkmcnt(0)
	v_add_f64 v[0:1], v[16:17], v[8:9]
	v_add_f64 v[24:25], v[8:9], -v[26:27]
	v_fma_f64 v[4:5], v[20:21], -0.5, v[16:17]
	s_mov_b32 s10, s0
	v_add_f64 v[22:23], v[10:11], -v[14:15]
	s_mov_b32 s9, 0x3fd3c6ef
	v_add_f64 v[20:21], v[2:3], -v[6:7]
	v_add_f64 v[30:31], v[12:13], -v[28:29]
	v_add_f64 v[32:33], v[8:9], v[12:13]
	v_add_f64 v[0:1], v[0:1], v[26:27]
	;; [unrolled: 1-line block ×3, first 2 shown]
	v_add_f64 v[40:41], v[28:29], -v[12:13]
	v_fma_f64 v[34:35], v[22:23], s[0:1], v[4:5]
	v_fma_f64 v[36:37], v[22:23], s[10:11], v[4:5]
	s_mov_b32 s17, 0x3fe2cf23
	v_add_f64 v[24:25], v[24:25], v[30:31]
	v_fma_f64 v[16:17], v[32:33], -0.5, v[16:17]
	v_add_f64 v[32:33], v[2:3], v[6:7]
	v_add_f64 v[0:1], v[0:1], v[28:29]
	s_mov_b32 s16, s2
	v_fma_f64 v[30:31], v[20:21], s[2:3], v[34:35]
	v_add_f64 v[34:35], v[10:11], v[14:15]
	v_fma_f64 v[38:39], v[20:21], s[10:11], v[16:17]
	v_fma_f64 v[32:33], v[32:33], -0.5, v[18:19]
	v_add_f64 v[0:1], v[0:1], v[12:13]
	v_fma_f64 v[16:17], v[20:21], s[0:1], v[16:17]
	v_fma_f64 v[4:5], v[24:25], s[8:9], v[30:31]
	v_add_f64 v[30:31], v[26:27], -v[8:9]
	v_add_f64 v[8:9], v[8:9], -v[12:13]
	;; [unrolled: 1-line block ×3, first 2 shown]
	v_fma_f64 v[18:19], v[34:35], -0.5, v[18:19]
	v_fma_f64 v[12:13], v[20:21], s[16:17], v[36:37]
	v_add_f64 v[20:21], v[42:43], v[2:3]
	v_fma_f64 v[28:29], v[22:23], s[2:3], v[38:39]
	v_add_f64 v[36:37], v[10:11], -v[2:3]
	v_add_f64 v[38:39], v[14:15], -v[6:7]
	v_fma_f64 v[34:35], v[8:9], s[10:11], v[32:33]
	v_add_f64 v[30:31], v[30:31], v[40:41]
	v_fma_f64 v[40:41], v[26:27], s[0:1], v[18:19]
	v_add_f64 v[2:3], v[2:3], -v[10:11]
	v_add_f64 v[10:11], v[6:7], -v[14:15]
	v_fma_f64 v[18:19], v[26:27], s[10:11], v[18:19]
	v_fma_f64 v[32:33], v[8:9], s[0:1], v[32:33]
	v_add_f64 v[6:7], v[20:21], v[6:7]
	v_fma_f64 v[16:17], v[22:23], s[16:17], v[16:17]
	v_fma_f64 v[20:21], v[26:27], s[16:17], v[34:35]
	v_add_f64 v[22:23], v[36:37], v[38:39]
	v_fma_f64 v[34:35], v[8:9], s[16:17], v[40:41]
	v_add_f64 v[10:11], v[2:3], v[10:11]
	v_fma_f64 v[18:19], v[8:9], s[2:3], v[18:19]
	v_fma_f64 v[26:27], v[26:27], s[2:3], v[32:33]
	v_add_f64 v[2:3], v[6:7], v[14:15]
	v_fma_f64 v[8:9], v[24:25], s[8:9], v[12:13]
	v_fma_f64 v[12:13], v[30:31], s[8:9], v[28:29]
	;; [unrolled: 1-line block ×7, first 2 shown]
	ds_write_b128 v141, v[0:3]
	ds_write_b128 v141, v[4:7] offset:3328
	ds_write_b128 v141, v[12:15] offset:6656
	;; [unrolled: 1-line block ×4, first 2 shown]
	s_waitcnt lgkmcnt(0)
	s_barrier
	s_and_b64 exec, exec, vcc
	s_cbranch_execz .LBB0_23
; %bb.22:
	global_load_dwordx4 v[2:5], v141, s[14:15]
	global_load_dwordx4 v[6:9], v141, s[14:15] offset:1280
	global_load_dwordx4 v[10:13], v141, s[14:15] offset:2560
	;; [unrolled: 1-line block ×3, first 2 shown]
	v_mov_b32_e32 v1, s15
	v_add_co_u32_e32 v0, vcc, s14, v141
	v_addc_co_u32_e32 v1, vcc, 0, v1, vcc
	s_movk_i32 s0, 0x1000
	v_add_co_u32_e32 v62, vcc, s0, v0
	v_addc_co_u32_e32 v63, vcc, 0, v1, vcc
	global_load_dwordx4 v[18:21], v[62:63], off offset:1024
	ds_read_b128 v[22:25], v141
	ds_read_b128 v[26:29], v141 offset:1280
	ds_read_b128 v[30:33], v141 offset:2560
	;; [unrolled: 1-line block ×5, first 2 shown]
	global_load_dwordx4 v[50:53], v[62:63], off offset:2304
	s_movk_i32 s8, 0x2000
	v_add_co_u32_e32 v74, vcc, s8, v0
	ds_read_b128 v[46:49], v141 offset:15360
	v_addc_co_u32_e32 v75, vcc, 0, v1, vcc
	global_load_dwordx4 v[54:57], v[62:63], off offset:3584
	global_load_dwordx4 v[58:61], v[74:75], off offset:768
	v_mad_u64_u32 v[70:71], s[0:1], s6, v140, 0
	v_mad_u64_u32 v[72:73], s[2:3], s4, v142, 0
	s_mul_i32 s3, s5, 0x500
	s_mul_hi_u32 s6, s4, 0x500
	v_mov_b32_e32 v62, v71
	v_mov_b32_e32 v63, v73
	s_add_i32 s3, s6, s3
	v_mad_u64_u32 v[76:77], s[6:7], s7, v140, v[62:63]
	v_mad_u64_u32 v[77:78], s[6:7], s5, v142, v[63:64]
	v_or_b32_e32 v84, 0x280, v142
	v_mov_b32_e32 v71, v76
	v_lshlrev_b32_e32 v80, 4, v84
	v_lshlrev_b64 v[70:71], 4, v[70:71]
	global_load_dwordx4 v[62:65], v80, s[14:15]
	global_load_dwordx4 v[66:69], v[74:75], off offset:3328
	v_mov_b32_e32 v79, s13
	v_mov_b32_e32 v73, v77
	v_add_co_u32_e32 v87, vcc, s12, v70
	v_addc_co_u32_e32 v88, vcc, v79, v71, vcc
	v_lshlrev_b64 v[72:73], 4, v[72:73]
	s_mul_i32 s2, s4, 0x500
	v_add_co_u32_e32 v70, vcc, v87, v72
	v_addc_co_u32_e32 v71, vcc, v88, v73, vcc
	v_mov_b32_e32 v81, s3
	v_add_co_u32_e32 v72, vcc, s2, v70
	v_addc_co_u32_e32 v73, vcc, v71, v81, vcc
	s_mov_b32 s0, 0x1f81f820
	s_mov_b32 s1, 0x3f4f81f8
	v_mov_b32_e32 v85, s3
	s_movk_i32 s6, 0x3000
	v_mov_b32_e32 v86, s3
	s_waitcnt vmcnt(9) lgkmcnt(6)
	v_mul_f64 v[74:75], v[24:25], v[4:5]
	v_mul_f64 v[4:5], v[22:23], v[4:5]
	s_waitcnt vmcnt(8) lgkmcnt(5)
	v_mul_f64 v[76:77], v[28:29], v[8:9]
	v_mul_f64 v[8:9], v[26:27], v[8:9]
	;; [unrolled: 3-line block ×4, first 2 shown]
	v_fma_f64 v[22:23], v[22:23], v[2:3], v[74:75]
	v_fma_f64 v[4:5], v[2:3], v[24:25], -v[4:5]
	v_fma_f64 v[24:25], v[26:27], v[6:7], v[76:77]
	v_fma_f64 v[8:9], v[6:7], v[28:29], -v[8:9]
	;; [unrolled: 2-line block ×3, first 2 shown]
	s_waitcnt vmcnt(5) lgkmcnt(2)
	v_mul_f64 v[82:83], v[40:41], v[20:21]
	v_mul_f64 v[20:21], v[38:39], v[20:21]
	;; [unrolled: 1-line block ×8, first 2 shown]
	v_fma_f64 v[28:29], v[34:35], v[14:15], v[80:81]
	v_fma_f64 v[16:17], v[14:15], v[36:37], -v[16:17]
	v_add_co_u32_e32 v22, vcc, s2, v72
	v_addc_co_u32_e32 v23, vcc, v73, v85, vcc
	v_fma_f64 v[24:25], v[38:39], v[18:19], v[82:83]
	v_fma_f64 v[18:19], v[18:19], v[40:41], -v[20:21]
	v_add_co_u32_e32 v20, vcc, s6, v0
	global_store_dwordx4 v[70:71], v[2:5], off
	global_store_dwordx4 v[72:73], v[6:9], off
	;; [unrolled: 1-line block ×3, first 2 shown]
	v_addc_co_u32_e32 v21, vcc, 0, v1, vcc
	global_load_dwordx4 v[0:3], v[20:21], off offset:512
	global_load_dwordx4 v[8:11], v[20:21], off offset:1792
	v_mul_f64 v[14:15], v[28:29], s[0:1]
	v_mul_f64 v[16:17], v[16:17], s[0:1]
	v_add_co_u32_e32 v26, vcc, s2, v22
	v_addc_co_u32_e32 v27, vcc, v23, v86, vcc
	v_mul_f64 v[6:7], v[18:19], s[0:1]
	s_waitcnt vmcnt(9) lgkmcnt(1)
	v_mul_f64 v[22:23], v[44:45], v[52:53]
	v_mul_f64 v[28:29], v[42:43], v[52:53]
	global_store_dwordx4 v[26:27], v[14:17], off
	global_load_dwordx4 v[16:19], v[20:21], off offset:3072
	ds_read_b128 v[12:15], v141 offset:7680
	v_mul_f64 v[4:5], v[24:25], s[0:1]
	v_mov_b32_e32 v34, s3
	v_add_co_u32_e32 v26, vcc, s2, v26
	v_fma_f64 v[24:25], v[42:43], v[50:51], v[22:23]
	ds_read_b128 v[20:23], v141 offset:8960
	v_fma_f64 v[28:29], v[50:51], v[44:45], -v[28:29]
	s_waitcnt vmcnt(10) lgkmcnt(1)
	v_mul_f64 v[30:31], v[14:15], v[56:57]
	v_mul_f64 v[32:33], v[12:13], v[56:57]
	v_addc_co_u32_e32 v27, vcc, v27, v34, vcc
	global_store_dwordx4 v[26:27], v[4:7], off
	v_add_co_u32_e32 v26, vcc, s2, v26
	v_mul_f64 v[4:5], v[24:25], s[0:1]
	v_mul_f64 v[6:7], v[28:29], s[0:1]
	v_fma_f64 v[12:13], v[12:13], v[54:55], v[30:31]
	v_fma_f64 v[14:15], v[54:55], v[14:15], -v[32:33]
	s_waitcnt vmcnt(10) lgkmcnt(0)
	v_mul_f64 v[24:25], v[22:23], v[60:61]
	v_addc_co_u32_e32 v27, vcc, v27, v34, vcc
	v_mul_f64 v[28:29], v[20:21], v[60:61]
	v_mov_b32_e32 v30, s3
	global_store_dwordx4 v[26:27], v[4:7], off
	v_mov_b32_e32 v32, s3
	v_mul_f64 v[4:5], v[12:13], s[0:1]
	v_mul_f64 v[6:7], v[14:15], s[0:1]
	v_fma_f64 v[12:13], v[20:21], v[58:59], v[24:25]
	v_add_co_u32_e32 v24, vcc, s2, v26
	v_addc_co_u32_e32 v25, vcc, v27, v30, vcc
	v_fma_f64 v[14:15], v[58:59], v[22:23], -v[28:29]
	ds_read_b128 v[20:23], v141 offset:11520
	global_store_dwordx4 v[24:25], v[4:7], off
	ds_read_b128 v[4:7], v141 offset:10240
	v_mad_u64_u32 v[30:31], s[6:7], s4, v84, 0
	v_mul_f64 v[12:13], v[12:13], s[0:1]
	v_add_co_u32_e32 v24, vcc, s2, v24
	s_waitcnt vmcnt(11) lgkmcnt(0)
	v_mul_f64 v[26:27], v[6:7], v[64:65]
	v_mul_f64 v[28:29], v[4:5], v[64:65]
	;; [unrolled: 1-line block ×3, first 2 shown]
	v_addc_co_u32_e32 v25, vcc, v25, v32, vcc
	s_waitcnt vmcnt(10)
	v_mul_f64 v[32:33], v[20:21], v[68:69]
	v_fma_f64 v[4:5], v[4:5], v[62:63], v[26:27]
	v_fma_f64 v[6:7], v[62:63], v[6:7], -v[28:29]
	v_mul_f64 v[27:28], v[22:23], v[68:69]
	v_mov_b32_e32 v26, v31
	global_store_dwordx4 v[24:25], v[12:15], off
	ds_read_b128 v[12:15], v141 offset:12800
	v_fma_f64 v[22:23], v[66:67], v[22:23], -v[32:33]
	v_mul_f64 v[4:5], v[4:5], s[0:1]
	v_mul_f64 v[6:7], v[6:7], s[0:1]
	v_mad_u64_u32 v[34:35], s[6:7], s5, v84, v[26:27]
	v_fma_f64 v[20:21], v[20:21], v[66:67], v[27:28]
	v_mov_b32_e32 v28, 0xa00
	v_mov_b32_e32 v31, v34
	v_lshlrev_b64 v[29:30], 4, v[30:31]
	v_mul_f64 v[22:23], v[22:23], s[0:1]
	v_add_co_u32_e32 v26, vcc, v87, v29
	v_addc_co_u32_e32 v27, vcc, v88, v30, vcc
	global_store_dwordx4 v[26:27], v[4:7], off
	ds_read_b128 v[4:7], v141 offset:14080
	s_waitcnt vmcnt(8) lgkmcnt(1)
	v_mul_f64 v[26:27], v[14:15], v[2:3]
	v_mul_f64 v[2:3], v[12:13], v[2:3]
	v_mul_f64 v[20:21], v[20:21], s[0:1]
	v_mad_u64_u32 v[24:25], s[6:7], s4, v28, v[24:25]
	s_mul_i32 s4, s5, 0xa00
	v_add_u32_e32 v25, s4, v25
	v_fma_f64 v[12:13], v[12:13], v[0:1], v[26:27]
	v_fma_f64 v[2:3], v[0:1], v[14:15], -v[2:3]
	s_waitcnt vmcnt(7) lgkmcnt(0)
	v_mul_f64 v[14:15], v[6:7], v[10:11]
	v_mul_f64 v[10:11], v[4:5], v[10:11]
	s_waitcnt vmcnt(5)
	v_mul_f64 v[26:27], v[48:49], v[18:19]
	v_mul_f64 v[18:19], v[46:47], v[18:19]
	global_store_dwordx4 v[24:25], v[20:23], off
	v_mul_f64 v[0:1], v[12:13], s[0:1]
	v_mul_f64 v[2:3], v[2:3], s[0:1]
	v_fma_f64 v[4:5], v[4:5], v[8:9], v[14:15]
	v_fma_f64 v[6:7], v[8:9], v[6:7], -v[10:11]
	v_fma_f64 v[8:9], v[46:47], v[16:17], v[26:27]
	v_fma_f64 v[10:11], v[16:17], v[48:49], -v[18:19]
	v_mov_b32_e32 v13, s3
	v_add_co_u32_e32 v12, vcc, s2, v24
	v_addc_co_u32_e32 v13, vcc, v25, v13, vcc
	global_store_dwordx4 v[12:13], v[0:3], off
	v_mov_b32_e32 v14, s3
	v_mul_f64 v[0:1], v[4:5], s[0:1]
	v_mul_f64 v[2:3], v[6:7], s[0:1]
	;; [unrolled: 1-line block ×4, first 2 shown]
	v_add_co_u32_e32 v8, vcc, s2, v12
	v_addc_co_u32_e32 v9, vcc, v13, v14, vcc
	global_store_dwordx4 v[8:9], v[0:3], off
	s_nop 0
	v_mov_b32_e32 v1, s3
	v_add_co_u32_e32 v0, vcc, s2, v8
	v_addc_co_u32_e32 v1, vcc, v9, v1, vcc
	global_store_dwordx4 v[0:1], v[4:7], off
.LBB0_23:
	s_endpgm
	.section	.rodata,"a",@progbits
	.p2align	6, 0x0
	.amdhsa_kernel bluestein_single_back_len1040_dim1_dp_op_CI_CI
		.amdhsa_group_segment_fixed_size 16640
		.amdhsa_private_segment_fixed_size 0
		.amdhsa_kernarg_size 104
		.amdhsa_user_sgpr_count 6
		.amdhsa_user_sgpr_private_segment_buffer 1
		.amdhsa_user_sgpr_dispatch_ptr 0
		.amdhsa_user_sgpr_queue_ptr 0
		.amdhsa_user_sgpr_kernarg_segment_ptr 1
		.amdhsa_user_sgpr_dispatch_id 0
		.amdhsa_user_sgpr_flat_scratch_init 0
		.amdhsa_user_sgpr_private_segment_size 0
		.amdhsa_uses_dynamic_stack 0
		.amdhsa_system_sgpr_private_segment_wavefront_offset 0
		.amdhsa_system_sgpr_workgroup_id_x 1
		.amdhsa_system_sgpr_workgroup_id_y 0
		.amdhsa_system_sgpr_workgroup_id_z 0
		.amdhsa_system_sgpr_workgroup_info 0
		.amdhsa_system_vgpr_workitem_id 0
		.amdhsa_next_free_vgpr 206
		.amdhsa_next_free_sgpr 48
		.amdhsa_reserve_vcc 1
		.amdhsa_reserve_flat_scratch 0
		.amdhsa_float_round_mode_32 0
		.amdhsa_float_round_mode_16_64 0
		.amdhsa_float_denorm_mode_32 3
		.amdhsa_float_denorm_mode_16_64 3
		.amdhsa_dx10_clamp 1
		.amdhsa_ieee_mode 1
		.amdhsa_fp16_overflow 0
		.amdhsa_exception_fp_ieee_invalid_op 0
		.amdhsa_exception_fp_denorm_src 0
		.amdhsa_exception_fp_ieee_div_zero 0
		.amdhsa_exception_fp_ieee_overflow 0
		.amdhsa_exception_fp_ieee_underflow 0
		.amdhsa_exception_fp_ieee_inexact 0
		.amdhsa_exception_int_div_zero 0
	.end_amdhsa_kernel
	.text
.Lfunc_end0:
	.size	bluestein_single_back_len1040_dim1_dp_op_CI_CI, .Lfunc_end0-bluestein_single_back_len1040_dim1_dp_op_CI_CI
                                        ; -- End function
	.section	.AMDGPU.csdata,"",@progbits
; Kernel info:
; codeLenInByte = 17132
; NumSgprs: 52
; NumVgprs: 206
; ScratchSize: 0
; MemoryBound: 0
; FloatMode: 240
; IeeeMode: 1
; LDSByteSize: 16640 bytes/workgroup (compile time only)
; SGPRBlocks: 6
; VGPRBlocks: 51
; NumSGPRsForWavesPerEU: 52
; NumVGPRsForWavesPerEU: 206
; Occupancy: 1
; WaveLimiterHint : 1
; COMPUTE_PGM_RSRC2:SCRATCH_EN: 0
; COMPUTE_PGM_RSRC2:USER_SGPR: 6
; COMPUTE_PGM_RSRC2:TRAP_HANDLER: 0
; COMPUTE_PGM_RSRC2:TGID_X_EN: 1
; COMPUTE_PGM_RSRC2:TGID_Y_EN: 0
; COMPUTE_PGM_RSRC2:TGID_Z_EN: 0
; COMPUTE_PGM_RSRC2:TIDIG_COMP_CNT: 0
	.type	__hip_cuid_35280645db897f6d,@object ; @__hip_cuid_35280645db897f6d
	.section	.bss,"aw",@nobits
	.globl	__hip_cuid_35280645db897f6d
__hip_cuid_35280645db897f6d:
	.byte	0                               ; 0x0
	.size	__hip_cuid_35280645db897f6d, 1

	.ident	"AMD clang version 19.0.0git (https://github.com/RadeonOpenCompute/llvm-project roc-6.4.0 25133 c7fe45cf4b819c5991fe208aaa96edf142730f1d)"
	.section	".note.GNU-stack","",@progbits
	.addrsig
	.addrsig_sym __hip_cuid_35280645db897f6d
	.amdgpu_metadata
---
amdhsa.kernels:
  - .args:
      - .actual_access:  read_only
        .address_space:  global
        .offset:         0
        .size:           8
        .value_kind:     global_buffer
      - .actual_access:  read_only
        .address_space:  global
        .offset:         8
        .size:           8
        .value_kind:     global_buffer
      - .actual_access:  read_only
        .address_space:  global
        .offset:         16
        .size:           8
        .value_kind:     global_buffer
      - .actual_access:  read_only
        .address_space:  global
        .offset:         24
        .size:           8
        .value_kind:     global_buffer
      - .actual_access:  read_only
        .address_space:  global
        .offset:         32
        .size:           8
        .value_kind:     global_buffer
      - .offset:         40
        .size:           8
        .value_kind:     by_value
      - .address_space:  global
        .offset:         48
        .size:           8
        .value_kind:     global_buffer
      - .address_space:  global
        .offset:         56
        .size:           8
        .value_kind:     global_buffer
      - .address_space:  global
        .offset:         64
        .size:           8
        .value_kind:     global_buffer
      - .address_space:  global
        .offset:         72
        .size:           8
        .value_kind:     global_buffer
      - .offset:         80
        .size:           4
        .value_kind:     by_value
      - .address_space:  global
        .offset:         88
        .size:           8
        .value_kind:     global_buffer
      - .address_space:  global
        .offset:         96
        .size:           8
        .value_kind:     global_buffer
    .group_segment_fixed_size: 16640
    .kernarg_segment_align: 8
    .kernarg_segment_size: 104
    .language:       OpenCL C
    .language_version:
      - 2
      - 0
    .max_flat_workgroup_size: 208
    .name:           bluestein_single_back_len1040_dim1_dp_op_CI_CI
    .private_segment_fixed_size: 0
    .sgpr_count:     52
    .sgpr_spill_count: 0
    .symbol:         bluestein_single_back_len1040_dim1_dp_op_CI_CI.kd
    .uniform_work_group_size: 1
    .uses_dynamic_stack: false
    .vgpr_count:     206
    .vgpr_spill_count: 0
    .wavefront_size: 64
amdhsa.target:   amdgcn-amd-amdhsa--gfx906
amdhsa.version:
  - 1
  - 2
...

	.end_amdgpu_metadata
